;; amdgpu-corpus repo=ROCm/rocFFT kind=compiled arch=gfx906 opt=O3
	.text
	.amdgcn_target "amdgcn-amd-amdhsa--gfx906"
	.amdhsa_code_object_version 6
	.protected	fft_rtc_back_len1326_factors_17_6_13_wgs_204_tpt_102_halfLds_half_op_CI_CI_unitstride_sbrr_dirReg ; -- Begin function fft_rtc_back_len1326_factors_17_6_13_wgs_204_tpt_102_halfLds_half_op_CI_CI_unitstride_sbrr_dirReg
	.globl	fft_rtc_back_len1326_factors_17_6_13_wgs_204_tpt_102_halfLds_half_op_CI_CI_unitstride_sbrr_dirReg
	.p2align	8
	.type	fft_rtc_back_len1326_factors_17_6_13_wgs_204_tpt_102_halfLds_half_op_CI_CI_unitstride_sbrr_dirReg,@function
fft_rtc_back_len1326_factors_17_6_13_wgs_204_tpt_102_halfLds_half_op_CI_CI_unitstride_sbrr_dirReg: ; @fft_rtc_back_len1326_factors_17_6_13_wgs_204_tpt_102_halfLds_half_op_CI_CI_unitstride_sbrr_dirReg
; %bb.0:
	s_load_dwordx4 s[8:11], s[4:5], 0x58
	s_load_dwordx4 s[12:15], s[4:5], 0x0
	;; [unrolled: 1-line block ×3, first 2 shown]
	v_mul_u32_u24_e32 v1, 0x283, v0
	v_lshrrev_b32_e32 v3, 16, v1
	v_mov_b32_e32 v6, 0
	s_waitcnt lgkmcnt(0)
	v_cmp_lt_u64_e64 s[0:1], s[14:15], 2
	v_mov_b32_e32 v1, 0
	v_lshl_add_u32 v9, s6, 1, v3
	v_mov_b32_e32 v10, v6
	s_and_b64 vcc, exec, s[0:1]
	v_mov_b32_e32 v2, 0
	s_cbranch_vccnz .LBB0_8
; %bb.1:
	s_load_dwordx2 s[0:1], s[4:5], 0x10
	s_add_u32 s2, s18, 8
	s_addc_u32 s3, s19, 0
	s_add_u32 s6, s16, 8
	v_mov_b32_e32 v1, 0
	s_addc_u32 s7, s17, 0
	v_mov_b32_e32 v2, 0
	s_waitcnt lgkmcnt(0)
	s_add_u32 s20, s0, 8
	v_mov_b32_e32 v5, v2
	s_addc_u32 s21, s1, 0
	s_mov_b64 s[22:23], 1
	v_mov_b32_e32 v4, v1
.LBB0_2:                                ; =>This Inner Loop Header: Depth=1
	s_load_dwordx2 s[24:25], s[20:21], 0x0
	s_waitcnt lgkmcnt(0)
	v_or_b32_e32 v7, s25, v10
	v_cmp_ne_u64_e32 vcc, 0, v[6:7]
                                        ; implicit-def: $vgpr7_vgpr8
	s_and_saveexec_b64 s[0:1], vcc
	s_xor_b64 s[26:27], exec, s[0:1]
	s_cbranch_execz .LBB0_4
; %bb.3:                                ;   in Loop: Header=BB0_2 Depth=1
	v_cvt_f32_u32_e32 v7, s24
	v_cvt_f32_u32_e32 v8, s25
	s_sub_u32 s0, 0, s24
	s_subb_u32 s1, 0, s25
	v_mac_f32_e32 v7, 0x4f800000, v8
	v_rcp_f32_e32 v7, v7
	v_mul_f32_e32 v7, 0x5f7ffffc, v7
	v_mul_f32_e32 v8, 0x2f800000, v7
	v_trunc_f32_e32 v8, v8
	v_mac_f32_e32 v7, 0xcf800000, v8
	v_cvt_u32_f32_e32 v8, v8
	v_cvt_u32_f32_e32 v7, v7
	v_mul_lo_u32 v11, s0, v8
	v_mul_hi_u32 v12, s0, v7
	v_mul_lo_u32 v14, s1, v7
	v_mul_lo_u32 v13, s0, v7
	v_add_u32_e32 v11, v12, v11
	v_add_u32_e32 v11, v11, v14
	v_mul_hi_u32 v12, v7, v13
	v_mul_lo_u32 v14, v7, v11
	v_mul_hi_u32 v16, v7, v11
	v_mul_hi_u32 v15, v8, v13
	v_mul_lo_u32 v13, v8, v13
	v_mul_hi_u32 v17, v8, v11
	v_add_co_u32_e32 v12, vcc, v12, v14
	v_addc_co_u32_e32 v14, vcc, 0, v16, vcc
	v_mul_lo_u32 v11, v8, v11
	v_add_co_u32_e32 v12, vcc, v12, v13
	v_addc_co_u32_e32 v12, vcc, v14, v15, vcc
	v_addc_co_u32_e32 v13, vcc, 0, v17, vcc
	v_add_co_u32_e32 v11, vcc, v12, v11
	v_addc_co_u32_e32 v12, vcc, 0, v13, vcc
	v_add_co_u32_e32 v7, vcc, v7, v11
	v_addc_co_u32_e32 v8, vcc, v8, v12, vcc
	v_mul_lo_u32 v11, s0, v8
	v_mul_hi_u32 v12, s0, v7
	v_mul_lo_u32 v13, s1, v7
	v_mul_lo_u32 v14, s0, v7
	v_add_u32_e32 v11, v12, v11
	v_add_u32_e32 v11, v11, v13
	v_mul_lo_u32 v15, v7, v11
	v_mul_hi_u32 v16, v7, v14
	v_mul_hi_u32 v17, v7, v11
	;; [unrolled: 1-line block ×3, first 2 shown]
	v_mul_lo_u32 v14, v8, v14
	v_mul_hi_u32 v12, v8, v11
	v_add_co_u32_e32 v15, vcc, v16, v15
	v_addc_co_u32_e32 v16, vcc, 0, v17, vcc
	v_mul_lo_u32 v11, v8, v11
	v_add_co_u32_e32 v14, vcc, v15, v14
	v_addc_co_u32_e32 v13, vcc, v16, v13, vcc
	v_addc_co_u32_e32 v12, vcc, 0, v12, vcc
	v_add_co_u32_e32 v11, vcc, v13, v11
	v_addc_co_u32_e32 v12, vcc, 0, v12, vcc
	v_add_co_u32_e32 v11, vcc, v7, v11
	v_addc_co_u32_e32 v12, vcc, v8, v12, vcc
	v_mad_u64_u32 v[7:8], s[0:1], v9, v12, 0
	v_mul_hi_u32 v13, v9, v11
	v_add_co_u32_e32 v13, vcc, v13, v7
	v_addc_co_u32_e32 v14, vcc, 0, v8, vcc
	v_mad_u64_u32 v[7:8], s[0:1], v10, v11, 0
	v_mad_u64_u32 v[11:12], s[0:1], v10, v12, 0
	v_add_co_u32_e32 v7, vcc, v13, v7
	v_addc_co_u32_e32 v7, vcc, v14, v8, vcc
	v_addc_co_u32_e32 v8, vcc, 0, v12, vcc
	v_add_co_u32_e32 v11, vcc, v7, v11
	v_addc_co_u32_e32 v12, vcc, 0, v8, vcc
	v_mul_lo_u32 v13, s25, v11
	v_mul_lo_u32 v14, s24, v12
	v_mad_u64_u32 v[7:8], s[0:1], s24, v11, 0
	v_add3_u32 v8, v8, v14, v13
	v_sub_u32_e32 v13, v10, v8
	v_mov_b32_e32 v14, s25
	v_sub_co_u32_e32 v7, vcc, v9, v7
	v_subb_co_u32_e64 v13, s[0:1], v13, v14, vcc
	v_subrev_co_u32_e64 v14, s[0:1], s24, v7
	v_subbrev_co_u32_e64 v13, s[0:1], 0, v13, s[0:1]
	v_cmp_le_u32_e64 s[0:1], s25, v13
	v_cndmask_b32_e64 v15, 0, -1, s[0:1]
	v_cmp_le_u32_e64 s[0:1], s24, v14
	v_cndmask_b32_e64 v14, 0, -1, s[0:1]
	v_cmp_eq_u32_e64 s[0:1], s25, v13
	v_cndmask_b32_e64 v13, v15, v14, s[0:1]
	v_add_co_u32_e64 v14, s[0:1], 2, v11
	v_addc_co_u32_e64 v15, s[0:1], 0, v12, s[0:1]
	v_add_co_u32_e64 v16, s[0:1], 1, v11
	v_addc_co_u32_e64 v17, s[0:1], 0, v12, s[0:1]
	v_subb_co_u32_e32 v8, vcc, v10, v8, vcc
	v_cmp_ne_u32_e64 s[0:1], 0, v13
	v_cmp_le_u32_e32 vcc, s25, v8
	v_cndmask_b32_e64 v13, v17, v15, s[0:1]
	v_cndmask_b32_e64 v15, 0, -1, vcc
	v_cmp_le_u32_e32 vcc, s24, v7
	v_cndmask_b32_e64 v7, 0, -1, vcc
	v_cmp_eq_u32_e32 vcc, s25, v8
	v_cndmask_b32_e32 v7, v15, v7, vcc
	v_cmp_ne_u32_e32 vcc, 0, v7
	v_cndmask_b32_e64 v7, v16, v14, s[0:1]
	v_cndmask_b32_e32 v8, v12, v13, vcc
	v_cndmask_b32_e32 v7, v11, v7, vcc
.LBB0_4:                                ;   in Loop: Header=BB0_2 Depth=1
	s_andn2_saveexec_b64 s[0:1], s[26:27]
	s_cbranch_execz .LBB0_6
; %bb.5:                                ;   in Loop: Header=BB0_2 Depth=1
	v_cvt_f32_u32_e32 v7, s24
	s_sub_i32 s26, 0, s24
	v_rcp_iflag_f32_e32 v7, v7
	v_mul_f32_e32 v7, 0x4f7ffffe, v7
	v_cvt_u32_f32_e32 v7, v7
	v_mul_lo_u32 v8, s26, v7
	v_mul_hi_u32 v8, v7, v8
	v_add_u32_e32 v7, v7, v8
	v_mul_hi_u32 v7, v9, v7
	v_mul_lo_u32 v8, v7, s24
	v_add_u32_e32 v11, 1, v7
	v_sub_u32_e32 v8, v9, v8
	v_subrev_u32_e32 v12, s24, v8
	v_cmp_le_u32_e32 vcc, s24, v8
	v_cndmask_b32_e32 v8, v8, v12, vcc
	v_cndmask_b32_e32 v7, v7, v11, vcc
	v_add_u32_e32 v11, 1, v7
	v_cmp_le_u32_e32 vcc, s24, v8
	v_cndmask_b32_e32 v7, v7, v11, vcc
	v_mov_b32_e32 v8, v6
.LBB0_6:                                ;   in Loop: Header=BB0_2 Depth=1
	s_or_b64 exec, exec, s[0:1]
	v_mul_lo_u32 v13, v8, s24
	v_mul_lo_u32 v14, v7, s25
	v_mad_u64_u32 v[11:12], s[0:1], v7, s24, 0
	s_load_dwordx2 s[0:1], s[6:7], 0x0
	s_load_dwordx2 s[24:25], s[2:3], 0x0
	v_add3_u32 v12, v12, v14, v13
	v_sub_co_u32_e32 v9, vcc, v9, v11
	v_subb_co_u32_e32 v10, vcc, v10, v12, vcc
	s_waitcnt lgkmcnt(0)
	v_mul_lo_u32 v11, s0, v10
	v_mul_lo_u32 v12, s1, v9
	v_mad_u64_u32 v[1:2], s[0:1], s0, v9, v[1:2]
	v_mul_lo_u32 v10, s24, v10
	v_mul_lo_u32 v13, s25, v9
	v_mad_u64_u32 v[4:5], s[0:1], s24, v9, v[4:5]
	s_add_u32 s22, s22, 1
	s_addc_u32 s23, s23, 0
	s_add_u32 s2, s2, 8
	v_add3_u32 v5, v13, v5, v10
	s_addc_u32 s3, s3, 0
	v_mov_b32_e32 v9, s14
	s_add_u32 s6, s6, 8
	v_mov_b32_e32 v10, s15
	s_addc_u32 s7, s7, 0
	v_cmp_ge_u64_e32 vcc, s[22:23], v[9:10]
	s_add_u32 s20, s20, 8
	v_add3_u32 v2, v12, v2, v11
	s_addc_u32 s21, s21, 0
	s_cbranch_vccnz .LBB0_9
; %bb.7:                                ;   in Loop: Header=BB0_2 Depth=1
	v_mov_b32_e32 v10, v8
	v_mov_b32_e32 v9, v7
	s_branch .LBB0_2
.LBB0_8:
	v_mov_b32_e32 v5, v2
	v_mov_b32_e32 v7, v9
	;; [unrolled: 1-line block ×4, first 2 shown]
.LBB0_9:
	s_lshl_b64 s[14:15], s[14:15], 3
	s_load_dwordx2 s[0:1], s[4:5], 0x28
	s_add_u32 s2, s18, s14
	s_mov_b32 s3, 0x2828283
	v_mul_hi_u32 v6, v0, s3
	s_addc_u32 s3, s19, s15
	s_load_dwordx2 s[4:5], s[2:3], 0x0
	s_waitcnt lgkmcnt(0)
	v_cmp_gt_u64_e32 vcc, s[0:1], v[7:8]
	v_mul_u32_u24_e32 v6, 0x66, v6
	v_sub_u32_e32 v9, v0, v6
	v_mov_b32_e32 v0, 0
	v_mov_b32_e32 v41, 0
	;; [unrolled: 1-line block ×3, first 2 shown]
                                        ; implicit-def: $vgpr15
                                        ; implicit-def: $vgpr32
                                        ; implicit-def: $vgpr16
                                        ; implicit-def: $vgpr33
                                        ; implicit-def: $vgpr17
                                        ; implicit-def: $vgpr34
                                        ; implicit-def: $vgpr18
                                        ; implicit-def: $vgpr35
                                        ; implicit-def: $vgpr19
                                        ; implicit-def: $vgpr36
                                        ; implicit-def: $vgpr20
                                        ; implicit-def: $vgpr37
                                        ; implicit-def: $vgpr21
                                        ; implicit-def: $vgpr38
                                        ; implicit-def: $vgpr22
                                        ; implicit-def: $vgpr39
                                        ; implicit-def: $vgpr23
                                        ; implicit-def: $vgpr47
                                        ; implicit-def: $vgpr24
                                        ; implicit-def: $vgpr46
                                        ; implicit-def: $vgpr25
                                        ; implicit-def: $vgpr45
                                        ; implicit-def: $vgpr26
                                        ; implicit-def: $vgpr44
                                        ; implicit-def: $vgpr27
                                        ; implicit-def: $vgpr43
                                        ; implicit-def: $vgpr28
                                        ; implicit-def: $vgpr42
                                        ; implicit-def: $vgpr29
                                        ; implicit-def: $vgpr40
                                        ; implicit-def: $vgpr30
	s_and_saveexec_b64 s[2:3], vcc
	s_cbranch_execz .LBB0_13
; %bb.10:
	s_movk_i32 s0, 0x4e
	v_cmp_gt_u32_e64 s[0:1], s0, v9
	v_mov_b32_e32 v41, 0
	v_mov_b32_e32 v0, 0
                                        ; implicit-def: $vgpr30
                                        ; implicit-def: $vgpr40
                                        ; implicit-def: $vgpr29
                                        ; implicit-def: $vgpr42
                                        ; implicit-def: $vgpr28
                                        ; implicit-def: $vgpr43
                                        ; implicit-def: $vgpr27
                                        ; implicit-def: $vgpr44
                                        ; implicit-def: $vgpr26
                                        ; implicit-def: $vgpr45
                                        ; implicit-def: $vgpr25
                                        ; implicit-def: $vgpr46
                                        ; implicit-def: $vgpr24
                                        ; implicit-def: $vgpr47
                                        ; implicit-def: $vgpr23
                                        ; implicit-def: $vgpr39
                                        ; implicit-def: $vgpr22
                                        ; implicit-def: $vgpr38
                                        ; implicit-def: $vgpr21
                                        ; implicit-def: $vgpr37
                                        ; implicit-def: $vgpr20
                                        ; implicit-def: $vgpr36
                                        ; implicit-def: $vgpr19
                                        ; implicit-def: $vgpr35
                                        ; implicit-def: $vgpr18
                                        ; implicit-def: $vgpr34
                                        ; implicit-def: $vgpr17
                                        ; implicit-def: $vgpr33
                                        ; implicit-def: $vgpr16
                                        ; implicit-def: $vgpr32
                                        ; implicit-def: $vgpr15
	s_and_saveexec_b64 s[6:7], s[0:1]
	s_cbranch_execz .LBB0_12
; %bb.11:
	s_add_u32 s0, s16, s14
	s_addc_u32 s1, s17, s15
	s_load_dwordx2 s[0:1], s[0:1], 0x0
	v_mov_b32_e32 v13, s9
	v_mov_b32_e32 v10, 0
	s_waitcnt lgkmcnt(0)
	v_mul_lo_u32 v0, s1, v7
	v_mul_lo_u32 v6, s0, v8
	v_mad_u64_u32 v[11:12], s[0:1], s0, v7, 0
	v_add3_u32 v12, v12, v6, v0
	v_lshlrev_b64 v[11:12], 2, v[11:12]
	v_lshlrev_b64 v[0:1], 2, v[1:2]
	v_add_co_u32_e64 v6, s[0:1], s8, v11
	v_addc_co_u32_e64 v11, s[0:1], v13, v12, s[0:1]
	v_add_co_u32_e64 v2, s[0:1], v6, v0
	v_addc_co_u32_e64 v6, s[0:1], v11, v1, s[0:1]
	v_lshlrev_b64 v[0:1], 2, v[9:10]
	v_add_co_u32_e64 v0, s[0:1], v2, v0
	v_addc_co_u32_e64 v1, s[0:1], v6, v1, s[0:1]
	s_movk_i32 s0, 0x1000
	v_add_co_u32_e64 v10, s[0:1], s0, v0
	global_load_dword v2, v[0:1], off
	global_load_dword v32, v[0:1], off offset:312
	global_load_dword v33, v[0:1], off offset:624
	;; [unrolled: 1-line block ×7, first 2 shown]
	v_addc_co_u32_e64 v11, s[0:1], 0, v1, s[0:1]
	global_load_dword v39, v[0:1], off offset:2496
	global_load_dword v6, v[0:1], off offset:2808
	;; [unrolled: 1-line block ×9, first 2 shown]
	s_mov_b32 s0, 0x5040100
	s_waitcnt vmcnt(16)
	v_lshrrev_b32_e32 v0, 16, v2
	s_waitcnt vmcnt(15)
	v_lshrrev_b32_e32 v15, 16, v32
	;; [unrolled: 2-line block ×17, first 2 shown]
	v_perm_b32 v41, v2, v6, s0
.LBB0_12:
	s_or_b64 exec, exec, s[6:7]
	v_mov_b32_e32 v6, v9
.LBB0_13:
	s_or_b64 exec, exec, s[2:3]
	v_sub_f16_e32 v1, v15, v23
	s_mov_b32 s0, 0xb5c8b964
	v_add_f16_e32 v14, v32, v47
	v_sub_f16_e32 v2, v16, v24
	s_mov_b32 s22, 0x3b7639e9
	v_pk_mul_f16 v56, v1, s0 op_sel_hi:[0,1]
	s_mov_b32 s0, 0xb964bbf7
	v_add_f16_e32 v31, v33, v46
	v_pk_fma_f16 v10, v14, s22, v56 op_sel_hi:[0,1,1] neg_lo:[0,0,1] neg_hi:[0,0,1]
	s_mov_b32 s23, 0x39e92de8
	v_pk_mul_f16 v69, v2, s0 op_sel_hi:[0,1]
	v_sub_f16_e32 v58, v17, v25
	s_mov_b32 s0, 0xbb29ba62
	v_add_f16_e32 v50, v34, v45
	v_pk_add_f16 v10, v41, v10 op_sel:[1,0]
	v_pk_fma_f16 v11, v31, s23, v69 op_sel_hi:[0,1,1] neg_lo:[0,0,1] neg_hi:[0,0,1]
	s_mov_b32 s24, 0x3722b8d2
	v_pk_mul_f16 v72, v58, s0 op_sel_hi:[0,1]
	s_mov_b32 s0, 0xbbf7b1e1
	v_sub_f16_e32 v59, v18, v26
	v_pk_add_f16 v10, v10, v11
	v_pk_fma_f16 v11, v50, s24, v72 op_sel_hi:[0,1,1] neg_lo:[0,0,1] neg_hi:[0,0,1]
	s_mov_b32 s25, 0x2de8bbdd
	v_add_f16_e32 v70, v35, v44
	v_pk_mul_f16 v76, v59, s0 op_sel_hi:[0,1]
	s_mov_b32 s0, 0xbbb23836
	v_sub_f16_e32 v68, v19, v27
	v_pk_add_f16 v10, v10, v11
	v_pk_fma_f16 v11, v70, s25, v76 op_sel_hi:[0,1,1] neg_lo:[0,0,1] neg_hi:[0,0,1]
	s_mov_b32 s6, 0xb461bacd
	v_add_f16_e32 v75, v36, v43
	;; [unrolled: 7-line block ×4, first 2 shown]
	v_pk_mul_f16 v77, v78, s0 op_sel_hi:[0,1]
	s_mov_b32 s0, 0xbb29bbf7
	v_pk_add_f16 v10, v10, v11
	v_pk_fma_f16 v11, v80, s8, v77 op_sel_hi:[0,1,1] neg_lo:[0,0,1] neg_hi:[0,0,1]
	s_mov_b32 s9, 0x37222de8
	v_pk_mul_f16 v48, v1, s0 op_sel_hi:[0,1]
	s_mov_b32 s0, 0xba62b1e1
	v_pk_add_f16 v10, v10, v11
	v_pk_fma_f16 v11, v14, s9, v48 op_sel_hi:[0,1,1] neg_lo:[0,0,1] neg_hi:[0,0,1]
	s_mov_b32 s14, 0xb8d2bbdd
	v_pk_mul_f16 v49, v2, s0 op_sel_hi:[0,1]
	s_mov_b32 s0, 0x31e13bb2
	v_pk_add_f16 v11, v41, v11 op_sel:[1,0]
	v_pk_fma_f16 v12, v31, s14, v49 op_sel_hi:[0,1,1] neg_lo:[0,0,1] neg_hi:[0,0,1]
	s_mov_b32 s15, 0xbbddb461
	v_pk_mul_f16 v51, v58, s0 op_sel_hi:[0,1]
	s_mov_b32 s0, 0x3bb235c8
	v_pk_add_f16 v11, v11, v12
	v_pk_fma_f16 v12, v50, s15, v51 op_sel_hi:[0,1,1] neg_lo:[0,0,1] neg_hi:[0,0,1]
	s_mov_b32 s16, 0xb4613b76
	v_pk_mul_f16 v52, v59, s0 op_sel_hi:[0,1]
	s_mov_b32 s0, 0x3964bb29
	v_pk_add_f16 v11, v11, v12
	;; [unrolled: 5-line block ×4, first 2 shown]
	v_pk_fma_f16 v12, v79, s18, v54 op_sel_hi:[0,1,1] neg_lo:[0,0,1] neg_hi:[0,0,1]
	s_mov_b32 s19, 0x2de8b8d2
	v_pk_mul_f16 v55, v78, s0 op_sel_hi:[0,1]
	s_mov_b32 s0, 0xb1e135c8
	v_sub_f16_e32 v82, v22, v30
	v_pk_add_f16 v11, v11, v12
	v_pk_fma_f16 v12, v80, s19, v55 op_sel_hi:[0,1,1] neg_lo:[0,0,1] neg_hi:[0,0,1]
	s_mov_b32 s21, 0xbbdd3b76
	v_add_f16_e32 v83, v39, v41
	v_pk_mul_f16 v81, v82, s0 op_sel_hi:[0,1]
	s_mov_b32 s0, 0xb8363964
	v_pk_add_f16 v12, v11, v12
	v_pk_fma_f16 v11, v83, s21, v81 op_sel_hi:[0,1,1] neg_lo:[0,0,1] neg_hi:[0,0,1]
	s_mov_b32 s20, 0xbacd39e9
	v_pk_mul_f16 v57, v82, s0 op_sel_hi:[0,1]
	v_pk_add_f16 v11, v10, v11
	v_pk_fma_f16 v10, v83, s20, v57 op_sel_hi:[0,1,1] neg_lo:[0,0,1] neg_hi:[0,0,1]
	s_mov_b32 s0, 0xb461
	v_mul_f16_e32 v60, 0xbbb2, v1
	v_pk_add_f16 v10, v12, v10
	v_fma_f16 v12, v14, s0, -v60
	s_mov_b32 s0, 0xbacd
	v_mul_f16_e32 v61, 0x3836, v2
	v_add_f16_sdwa v12, v41, v12 dst_sel:DWORD dst_unused:UNUSED_PAD src0_sel:WORD_1 src1_sel:DWORD
	v_fma_f16 v13, v31, s0, -v61
	s_movk_i32 s0, 0x39e9
	v_mul_f16_e32 v62, 0x3964, v58
	v_add_f16_e32 v12, v12, v13
	v_fma_f16 v13, v50, s0, -v62
	s_movk_i32 s0, 0x3722
	v_mul_f16_e32 v63, 0xbb29, v59
	v_add_f16_e32 v12, v12, v13
	v_fma_f16 v13, v70, s0, -v63
	s_mov_b32 s0, 0xbbdd
	v_mul_f16_e32 v64, 0xb1e1, v68
	v_add_f16_e32 v12, v12, v13
	v_fma_f16 v13, v75, s0, -v64
	s_movk_i32 s0, 0x2de8
	v_mul_f16_e32 v65, 0x3bf7, v73
	v_add_f16_e32 v12, v12, v13
	v_fma_f16 v13, v79, s0, -v65
	s_movk_i32 s0, 0x3b76
	v_mul_f16_e32 v66, 0xb5c8, v78
	v_add_f16_e32 v12, v12, v13
	v_fma_f16 v13, v80, s0, -v66
	s_mov_b32 s0, 0xb8d2
	v_mul_f16_e32 v67, 0xba62, v82
	v_add_f16_e32 v12, v12, v13
	v_fma_f16 v13, v83, s0, -v67
	v_and_b32_e32 v3, 1, v3
	v_add_f16_e32 v13, v12, v13
	v_mov_b32_e32 v12, 0x52e
	v_cmp_eq_u32_e64 s[0:1], 1, v3
	v_cndmask_b32_e64 v3, 0, v12, s[0:1]
	s_movk_i32 s0, 0x4e
	s_mov_b32 s26, 0xbbb2
	s_movk_i32 s28, 0x3964
	s_mov_b32 s30, 0xb1e1
	;; [unrolled: 2-line block ×3, first 2 shown]
	v_cmp_gt_u32_e64 s[2:3], s0, v9
	v_lshlrev_b32_e32 v12, 1, v3
	s_and_saveexec_b64 s[0:1], s[2:3]
	s_cbranch_execz .LBB0_15
; %bb.14:
	v_pk_mul_f16 v91, v14, s22 op_sel_hi:[0,1]
	s_mov_b32 s22, 0x7060302
	v_mul_f16_e32 v111, 0xbbdd, v14
	v_perm_b32 v93, v41, v41, s22
	v_mul_f16_e32 v112, 0x3b76, v31
	s_movk_i32 s22, 0x35c8
	v_fma_f16 v119, v1, s30, v111
	v_pk_mul_f16 v95, v31, s23 op_sel_hi:[0,1]
	v_mul_f16_e32 v113, 0xbacd, v50
	s_mov_b32 s23, 0xb836
	v_add_f16_sdwa v119, v41, v119 dst_sel:DWORD dst_unused:UNUSED_PAD src0_sel:WORD_1 src1_sel:DWORD
	v_fma_f16 v120, v2, s22, v112
	v_mul_f16_e32 v114, 0x39e9, v70
	v_add_f16_e32 v119, v119, v120
	v_fma_f16 v120, v58, s23, v113
	v_mul_f16_e32 v115, 0xb8d2, v75
	v_add_f16_e32 v119, v119, v120
	v_fma_f16 v120, v59, s28, v114
	v_pk_mul_f16 v98, v50, s24 op_sel_hi:[0,1]
	v_mul_f16_e32 v116, 0x3722, v79
	s_movk_i32 s24, 0x3b29
	v_add_f16_e32 v119, v119, v120
	v_fma_f16 v120, v68, s29, v115
	v_mul_f16_e32 v117, 0xb461, v80
	v_add_f16_e32 v119, v119, v120
	v_fma_f16 v120, v73, s24, v116
	v_mul_f16_e32 v118, 0x2de8, v83
	v_add_f16_e32 v119, v119, v120
	v_fma_f16 v120, v78, s26, v117
	v_pack_b32_f16 v90, v14, v14
	v_add_f16_e32 v119, v119, v120
	v_fma_f16 v120, v82, s27, v118
	s_mov_b32 s22, 0xbacdb8d2
	v_pack_b32_f16 v92, v1, v1
	v_pack_b32_f16 v94, v31, v31
	v_add_f16_e32 v119, v119, v120
	v_pk_mul_f16 v120, v90, s22
	s_mov_b32 s22, 0xb836ba62
	s_mov_b32 s23, 0x3722b461
	v_pack_b32_f16 v96, v2, v2
	v_pack_b32_f16 v97, v50, v50
	v_pk_mul_f16 v121, v92, s22
	v_pk_mul_f16 v122, v94, s23
	s_mov_b32 s23, 0x3b293bb2
	s_mov_b32 s24, 0x2de83b76
	v_pack_b32_f16 v99, v58, v58
	v_pack_b32_f16 v100, v70, v70
	v_pk_mul_f16 v101, v70, s25 op_sel_hi:[0,1]
	v_pk_mul_f16 v123, v96, s23
	v_pk_mul_f16 v124, v97, s24
	s_mov_b32 s24, 0xbbf7b5c8
	s_mov_b32 s25, 0xb8d2bacd
	v_sub_f16_e32 v137, v120, v121
	v_pack_b32_f16 v102, v59, v59
	v_pack_b32_f16 v103, v75, v75
	v_pk_mul_f16 v125, v99, s24
	v_pk_mul_f16 v126, v100, s25
	s_mov_b32 s25, 0x3a62b836
	s_mov_b32 s26, 0x3b762de8
	v_sub_f16_e32 v136, v122, v123
	v_add_f16_sdwa v137, v41, v137 dst_sel:DWORD dst_unused:UNUSED_PAD src0_sel:WORD_1 src1_sel:DWORD
	v_pk_add_f16 v72, v72, v98
	v_pk_mul_f16 v98, v80, s8 op_sel_hi:[0,1]
	v_pack_b32_f16 v104, v68, v68
	v_pack_b32_f16 v105, v79, v79
	v_pk_mul_f16 v127, v102, s25
	v_pk_mul_f16 v128, v103, s26
	s_mov_b32 s26, 0xb5c83bf7
	s_mov_b32 s27, 0xbbdd39e9
	v_add_f16_e32 v136, v137, v136
	v_sub_f16_e32 v137, v124, v125
	v_mul_f16_e32 v139, 0x3964, v59
	v_pk_add_f16 v59, v77, v98
	v_add_f16_sdwa v77, v41, v32 dst_sel:DWORD dst_unused:UNUSED_PAD src0_sel:WORD_1 src1_sel:DWORD
	v_pack_b32_f16 v106, v73, v73
	v_pack_b32_f16 v107, v80, v80
	v_pk_mul_f16 v129, v104, s26
	v_pk_mul_f16 v130, v105, s27
	s_mov_b32 s27, 0xb1e1b964
	s_mov_b32 s28, 0x39e9bbdd
	v_add_f16_e32 v136, v136, v137
	v_sub_f16_e32 v137, v126, v127
	v_add_f16_e32 v77, v77, v33
	v_pack_b32_f16 v108, v78, v78
	v_pack_b32_f16 v109, v83, v83
	v_pk_mul_f16 v131, v106, s27
	v_pk_mul_f16 v132, v107, s28
	s_mov_b32 s28, 0x3964b1e1
	s_mov_b32 s29, 0xb4613722
	v_add_f16_e32 v136, v136, v137
	v_sub_f16_e32 v137, v128, v129
	v_add_f16_e32 v77, v77, v34
	v_pack_b32_f16 v110, v82, v82
	v_pk_mul_f16 v133, v108, s28
	v_pk_mul_f16 v134, v109, s29
	s_mov_b32 s29, 0xbbb23b29
	v_add_f16_e32 v136, v136, v137
	v_sub_f16_e32 v137, v130, v131
	v_add_f16_e32 v77, v77, v35
	v_pk_mul_f16 v135, v110, s29
	v_add_f16_e32 v136, v136, v137
	v_sub_f16_e32 v137, v132, v133
	v_add_f16_e32 v77, v77, v36
	v_add_f16_e32 v136, v136, v137
	v_sub_f16_e32 v137, v134, v135
	v_add_f16_e32 v77, v77, v37
	v_add_f16_e32 v136, v136, v137
	v_pk_mul_f16 v137, v75, s6 op_sel_hi:[0,1]
	v_add_f16_e32 v77, v77, v38
	s_mov_b32 s6, 0xffff
	v_bfi_b32 v56, s6, v77, v56
	v_bfi_b32 v77, s6, v39, v91
	v_pk_add_f16 v69, v69, v95
	v_pk_add_f16 v56, v56, v77
	;; [unrolled: 1-line block ×3, first 2 shown]
	v_bfi_b32 v69, s6, v40, v69
	v_pk_add_f16 v76, v76, v101
	v_pk_add_f16 v56, v69, v56
	v_bfi_b32 v69, s6, v42, v72
	v_pk_mul_f16 v95, v79, s7 op_sel_hi:[0,1]
	v_pk_add_f16 v74, v74, v137
	v_pk_add_f16 v56, v69, v56
	v_bfi_b32 v69, s6, v43, v76
	v_mul_f16_e32 v138, 0xb836, v58
	v_pk_add_f16 v58, v71, v95
	v_pk_add_f16 v56, v69, v56
	v_bfi_b32 v69, s6, v44, v74
	v_pk_mul_f16 v101, v83, s21 op_sel_hi:[0,1]
	v_pk_add_f16 v56, v69, v56
	v_bfi_b32 v58, s6, v45, v58
	v_pk_add_f16 v71, v81, v101
	v_pk_add_f16 v56, v58, v56
	v_bfi_b32 v58, s6, v46, v59
	v_pk_add_f16 v56, v58, v56
	v_bfi_b32 v58, s6, v47, v71
	s_mov_b32 s8, 0x372239e9
	v_pk_add_f16 v58, v58, v56
	s_mov_b32 s7, 0xbb29b964
	v_pk_mul_f16 v56, v90, s8
	s_mov_b32 s8, 0xb8d22de8
	v_pk_fma_f16 v56, v92, s7, v56
	s_mov_b32 s7, 0xba62bbf7
	v_pk_mul_f16 v59, v94, s8
	v_pk_add_f16 v56, v93, v56
	v_pk_fma_f16 v59, v96, s7, v59
	s_mov_b32 s8, 0xbbddb8d2
	v_pk_add_f16 v56, v56, v59
	s_mov_b32 s7, 0x31e1ba62
	v_pk_mul_f16 v59, v97, s8
	v_pk_fma_f16 v59, v99, s7, v59
	s_mov_b32 s8, 0xb461bbdd
	v_pk_add_f16 v56, v56, v59
	s_mov_b32 s7, 0x3bb2b1e1
	v_pk_mul_f16 v59, v100, s8
	;; [unrolled: 5-line block ×6, first 2 shown]
	v_mul_f16_e32 v3, 0xb461, v14
	v_pk_mul_f16 v14, v14, s9 op_sel_hi:[0,1]
	v_pk_fma_f16 v59, v110, s7, v59
	s_mov_b32 s7, 0x5040100
	v_mul_f16_e32 v84, 0xbacd, v31
	v_pk_mul_f16 v31, v31, s14 op_sel_hi:[0,1]
	v_perm_b32 v48, v60, v48, s7
	v_perm_b32 v3, v3, v14, s7
	v_pk_add_f16 v3, v48, v3
	v_perm_b32 v14, v61, v49, s7
	v_perm_b32 v31, v84, v31, s7
	v_mul_f16_e32 v85, 0x39e9, v50
	v_pk_mul_f16 v50, v50, s15 op_sel_hi:[0,1]
	v_pk_add_f16 v3, v93, v3
	v_pk_add_f16 v14, v14, v31
	;; [unrolled: 1-line block ×3, first 2 shown]
	v_perm_b32 v14, v62, v51, s7
	v_perm_b32 v31, v85, v50, s7
	v_mul_f16_e32 v86, 0x3722, v70
	v_pk_mul_f16 v70, v70, s16 op_sel_hi:[0,1]
	v_pk_add_f16 v14, v14, v31
	v_pk_add_f16 v3, v3, v14
	v_perm_b32 v14, v63, v52, s7
	v_perm_b32 v31, v86, v70, s7
	v_mul_f16_e32 v87, 0xbbdd, v75
	v_pk_mul_f16 v75, v75, s17 op_sel_hi:[0,1]
	v_pk_add_f16 v14, v14, v31
	v_pk_add_f16 v3, v3, v14
	;; [unrolled: 6-line block ×4, first 2 shown]
	v_perm_b32 v14, v66, v55, s7
	v_perm_b32 v31, v89, v80, s7
	v_pk_mul_f16 v137, v83, s20 op_sel_hi:[0,1]
	v_mul_f16_e32 v83, 0xb8d2, v83
	v_pk_add_f16 v14, v14, v31
	v_pk_add_f16 v3, v3, v14
	v_perm_b32 v14, v67, v57, s7
	v_perm_b32 v31, v83, v137, s7
	v_pk_add_f16 v14, v14, v31
	v_pk_add_f16 v60, v3, v14
	v_pk_fma_f16 v3, v92, s22, v120
	v_pk_add_f16 v3, v93, v3
	v_pk_fma_f16 v14, v96, s23, v122
	;; [unrolled: 2-line block ×7, first 2 shown]
	v_mul_f16_e32 v1, 0xb1e1, v1
	v_pk_add_f16 v3, v3, v14
	v_pk_fma_f16 v14, v110, s29, v134
	v_mul_f16_e32 v2, 0x35c8, v2
	v_pk_add_f16 v61, v3, v14
	v_bfi_b32 v3, s6, v111, v120
	v_bfi_b32 v1, s6, v1, v121
	v_pk_add_f16 v1, v3, v1 neg_lo:[0,1] neg_hi:[0,1]
	v_bfi_b32 v3, s6, v112, v122
	v_bfi_b32 v2, s6, v2, v123
	v_pk_add_f16 v1, v93, v1
	v_pk_add_f16 v2, v3, v2 neg_lo:[0,1] neg_hi:[0,1]
	v_pk_add_f16 v1, v1, v2
	v_bfi_b32 v2, s6, v113, v124
	v_bfi_b32 v3, s6, v138, v125
	v_pk_add_f16 v2, v2, v3 neg_lo:[0,1] neg_hi:[0,1]
	v_pk_add_f16 v1, v1, v2
	v_bfi_b32 v2, s6, v114, v126
	v_bfi_b32 v3, s6, v139, v127
	v_mul_f16_e32 v68, 0xba62, v68
	v_pk_add_f16 v2, v2, v3 neg_lo:[0,1] neg_hi:[0,1]
	v_pk_add_f16 v1, v1, v2
	v_bfi_b32 v2, s6, v115, v128
	v_bfi_b32 v3, s6, v68, v129
	v_mul_f16_e32 v73, 0x3b29, v73
	;; [unrolled: 5-line block ×4, first 2 shown]
	v_pk_add_f16 v2, v2, v3 neg_lo:[0,1] neg_hi:[0,1]
	v_pk_add_f16 v1, v1, v2
	v_bfi_b32 v2, s6, v118, v134
	v_bfi_b32 v3, s6, v82, v135
	v_pk_add_f16 v2, v2, v3 neg_lo:[0,1] neg_hi:[0,1]
	v_mul_u32_u24_e32 v81, 34, v9
	v_pk_add_f16 v1, v1, v2
	v_add3_u32 v81, 0, v81, v12
	v_pk_add_f16 v59, v56, v59
	v_alignbit_b32 v2, v136, v1, 16
	v_pack_b32_f16 v1, v119, v1
	ds_write_b128 v81, v[58:61]
	ds_write_b64 v81, v[1:2] offset:16
	ds_write_b16 v81, v13 offset:24
	ds_write_b64 v81, v[10:11] offset:26
.LBB0_15:
	s_or_b64 exec, exec, s[0:1]
	v_lshlrev_b32_e32 v1, 1, v9
	v_add3_u32 v31, 0, v12, v1
	v_add_u32_e32 v1, 0, v1
	v_add_u32_e32 v14, v1, v12
	s_waitcnt lgkmcnt(0)
	s_barrier
	ds_read_u16 v49, v31
	ds_read_u16 v51, v14 offset:1768
	ds_read_u16 v50, v14 offset:1530
	;; [unrolled: 1-line block ×11, first 2 shown]
	v_cmp_gt_u32_e64 s[0:1], 17, v9
                                        ; implicit-def: $vgpr54
	s_and_saveexec_b64 s[6:7], s[0:1]
	s_cbranch_execz .LBB0_17
; %bb.16:
	ds_read_u16 v2, v14 offset:1734
	ds_read_u16 v3, v14 offset:2176
	;; [unrolled: 1-line block ×6, first 2 shown]
	s_mov_b32 s8, 0x5040100
	s_waitcnt lgkmcnt(4)
	v_perm_b32 v11, v3, v2, s8
	s_waitcnt lgkmcnt(1)
	v_perm_b32 v10, v61, v10, s8
.LBB0_17:
	s_or_b64 exec, exec, s[6:7]
	v_sub_f16_e32 v75, v32, v47
	s_mov_b32 s6, 0xb5c8b964
	v_add_f16_e32 v61, v15, v23
	v_sub_f16_e32 v73, v33, v46
	s_mov_b32 s8, 0x3b7639e9
	v_pk_mul_f16 v33, v75, s6 op_sel_hi:[0,1]
	s_mov_b32 s6, 0xb964bbf7
	v_add_f16_e32 v47, v16, v24
	v_sub_f16_e32 v71, v34, v45
	v_pk_fma_f16 v2, v61, s8, v33 op_sel_hi:[0,1,1]
	s_mov_b32 s9, 0x39e92de8
	v_pk_mul_f16 v34, v73, s6 op_sel_hi:[0,1]
	s_mov_b32 s6, 0xbb29ba62
	v_add_f16_e32 v46, v17, v25
	v_sub_f16_e32 v70, v35, v44
	v_pk_add_f16 v2, v0, v2 op_sel_hi:[0,1]
	v_pk_fma_f16 v3, v47, s9, v34 op_sel_hi:[0,1,1]
	s_mov_b32 s14, 0x3722b8d2
	v_pk_mul_f16 v35, v71, s6 op_sel_hi:[0,1]
	s_mov_b32 s6, 0xbbf7b1e1
	v_add_f16_e32 v45, v18, v26
	v_sub_f16_e32 v69, v36, v43
	v_pk_add_f16 v2, v2, v3
	v_pk_fma_f16 v3, v46, s14, v35 op_sel_hi:[0,1,1]
	s_mov_b32 s15, 0x2de8bbdd
	v_pk_mul_f16 v36, v70, s6 op_sel_hi:[0,1]
	s_mov_b32 s6, 0xbbb23836
	v_add_f16_e32 v44, v19, v27
	v_sub_f16_e32 v67, v37, v42
	v_pk_add_f16 v2, v2, v3
	v_pk_fma_f16 v3, v45, s15, v36 op_sel_hi:[0,1,1]
	s_mov_b32 s16, 0xb461bacd
	v_pk_mul_f16 v37, v69, s6 op_sel_hi:[0,1]
	s_mov_b32 s6, 0xba623bb2
	v_add_f16_e32 v43, v20, v28
	v_sub_f16_e32 v66, v38, v40
	v_sub_f16_e32 v65, v39, v41
	v_pk_add_f16 v2, v2, v3
	v_pk_fma_f16 v3, v44, s16, v37 op_sel_hi:[0,1,1]
	s_mov_b32 s17, 0xb8d2b461
	v_pk_mul_f16 v39, v67, s6 op_sel_hi:[0,1]
	s_mov_b32 s6, 0xb8363b29
	v_add_f16_e32 v42, v21, v29
	v_pk_add_f16 v2, v2, v3
	v_pk_fma_f16 v3, v43, s17, v39 op_sel_hi:[0,1,1]
	s_mov_b32 s18, 0xbacd3722
	v_pk_mul_f16 v40, v66, s6 op_sel_hi:[0,1]
	s_mov_b32 s6, 0xb1e135c8
	v_add_f16_e32 v38, v22, v30
	v_pk_add_f16 v2, v2, v3
	v_pk_fma_f16 v3, v42, s18, v40 op_sel_hi:[0,1,1]
	s_mov_b32 s19, 0xbbdd3b76
	v_pk_mul_f16 v41, v65, s6 op_sel_hi:[0,1]
	s_mov_b32 s6, 0xbb29bbf7
	v_pk_add_f16 v2, v2, v3
	v_pk_fma_f16 v3, v38, s19, v41 op_sel_hi:[0,1,1]
	s_mov_b32 s20, 0x37222de8
	v_pk_mul_f16 v62, v75, s6 op_sel_hi:[0,1]
	s_mov_b32 s6, 0xba62b1e1
	;; [unrolled: 5-line block ×3, first 2 shown]
	v_pk_add_f16 v2, v0, v2 op_sel_hi:[0,1]
	v_pk_fma_f16 v32, v47, s21, v63 op_sel_hi:[0,1,1]
	s_mov_b32 s22, 0xbbddb461
	v_pk_mul_f16 v64, v71, s6 op_sel_hi:[0,1]
	s_mov_b32 s6, 0x3bb235c8
	v_pk_add_f16 v2, v2, v32
	v_pk_fma_f16 v32, v46, s22, v64 op_sel_hi:[0,1,1]
	s_mov_b32 s23, 0xb4613b76
	v_pk_mul_f16 v68, v70, s6 op_sel_hi:[0,1]
	s_mov_b32 s6, 0x3964bb29
	v_pk_add_f16 v2, v2, v32
	;; [unrolled: 5-line block ×6, first 2 shown]
	v_pk_fma_f16 v32, v38, s27, v77 op_sel_hi:[0,1,1]
	v_pk_mul_f16 v78, v75, s6 op_sel_hi:[0,1]
	s_mov_b32 s6, 0x3bb23836
	v_pk_add_f16 v2, v2, v32
	v_pk_mul_f16 v79, v73, s6 op_sel_hi:[0,1]
	s_mov_b32 s6, 0xb5c83964
	v_pk_fma_f16 v32, v61, s17, v78 op_sel_hi:[0,1,1]
	v_pk_mul_f16 v80, v71, s6 op_sel_hi:[0,1]
	s_mov_b32 s6, 0xb836bb29
	v_pk_add_f16 v32, v0, v32 op_sel_hi:[0,1]
	v_pk_fma_f16 v86, v47, s16, v79 op_sel_hi:[0,1,1]
	v_pk_mul_f16 v81, v70, s6 op_sel_hi:[0,1]
	s_mov_b32 s6, 0x3bf7b1e1
	v_pk_add_f16 v32, v32, v86
	v_pk_fma_f16 v86, v46, s8, v80 op_sel_hi:[0,1,1]
	v_pk_mul_f16 v82, v69, s6 op_sel_hi:[0,1]
	s_mov_b32 s6, 0xb9643bf7
	v_pk_add_f16 v32, v32, v86
	;; [unrolled: 4-line block ×4, first 2 shown]
	v_pk_fma_f16 v86, v43, s9, v83 op_sel_hi:[0,1,1]
	v_pk_mul_f16 v85, v65, s6 op_sel_hi:[0,1]
	v_pk_add_f16 v32, v32, v86
	v_pk_fma_f16 v86, v42, s19, v84 op_sel_hi:[0,1,1]
	v_pk_add_f16 v32, v32, v86
	v_pk_fma_f16 v86, v38, s14, v85 op_sel_hi:[0,1,1]
	v_pk_add_f16 v32, v32, v86
	s_waitcnt lgkmcnt(0)
	s_barrier
	s_and_saveexec_b64 s[6:7], s[2:3]
	s_cbranch_execz .LBB0_19
; %bb.18:
	v_pk_mul_f16 v87, v61, s8 op_sel_hi:[0,1]
	s_mov_b32 s2, 0x5040100
	v_perm_b32 v88, v0, v0, s2
	v_pk_mul_f16 v90, v47, s9 op_sel_hi:[0,1]
	v_add_f16_e32 v0, v0, v15
	v_pk_add_f16 v15, v87, v33 neg_lo:[0,1] neg_hi:[0,1]
	v_pk_mul_f16 v92, v46, s14 op_sel_hi:[0,1]
	v_add_f16_e32 v0, v0, v16
	v_pk_add_f16 v15, v88, v15
	v_pk_add_f16 v16, v90, v34 neg_lo:[0,1] neg_hi:[0,1]
	v_pk_mul_f16 v94, v45, s15 op_sel_hi:[0,1]
	v_pk_add_f16 v15, v15, v16
	v_pk_add_f16 v16, v92, v35 neg_lo:[0,1] neg_hi:[0,1]
	v_pk_mul_f16 v96, v44, s16 op_sel_hi:[0,1]
	;; [unrolled: 3-line block ×8, first 2 shown]
	v_add_f16_e32 v0, v0, v17
	v_pk_add_f16 v16, v88, v16
	v_pk_add_f16 v17, v104, v63 neg_lo:[0,1] neg_hi:[0,1]
	v_pk_mul_f16 v106, v45, s23 op_sel_hi:[0,1]
	v_pk_add_f16 v16, v16, v17
	v_pk_add_f16 v17, v105, v64 neg_lo:[0,1] neg_hi:[0,1]
	v_pk_mul_f16 v107, v44, s24 op_sel_hi:[0,1]
	;; [unrolled: 3-line block ×5, first 2 shown]
	v_pk_add_f16 v16, v16, v17
	v_pk_add_f16 v17, v109, v76 neg_lo:[0,1] neg_hi:[0,1]
	v_pack_b32_f16 v86, v61, v61
	v_pk_mul_f16 v61, v61, s17 op_sel_hi:[0,1]
	v_pk_add_f16 v16, v16, v17
	v_pk_add_f16 v17, v110, v77 neg_lo:[0,1] neg_hi:[0,1]
	v_pack_b32_f16 v89, v47, v47
	v_pk_mul_f16 v47, v47, s16 op_sel_hi:[0,1]
	;; [unrolled: 4-line block ×3, first 2 shown]
	v_add_f16_e32 v0, v0, v18
	v_pk_add_f16 v17, v88, v17
	v_pk_add_f16 v18, v47, v79 neg_lo:[0,1] neg_hi:[0,1]
	v_pack_b32_f16 v93, v45, v45
	v_pk_mul_f16 v45, v45, s18 op_sel_hi:[0,1]
	v_add_f16_e32 v0, v0, v19
	v_pk_add_f16 v17, v17, v18
	v_pk_add_f16 v18, v46, v80 neg_lo:[0,1] neg_hi:[0,1]
	v_pack_b32_f16 v95, v44, v44
	v_pk_mul_f16 v44, v44, s15 op_sel_hi:[0,1]
	;; [unrolled: 5-line block ×4, first 2 shown]
	v_add_f16_e32 v0, v0, v22
	v_pk_add_f16 v17, v17, v18
	v_pk_add_f16 v18, v43, v83 neg_lo:[0,1] neg_hi:[0,1]
	v_pack_b32_f16 v75, v75, v75
	v_pack_b32_f16 v101, v38, v38
	v_pk_mul_f16 v38, v38, s14 op_sel_hi:[0,1]
	v_add_f16_e32 v0, v0, v30
	v_pk_add_f16 v17, v17, v18
	v_pk_add_f16 v18, v42, v84 neg_lo:[0,1] neg_hi:[0,1]
	s_mov_b32 s3, 0xb1e1b836
	v_pack_b32_f16 v73, v73, v73
	v_add_f16_e32 v0, v29, v0
	v_pk_add_f16 v17, v17, v18
	v_pk_add_f16 v18, v38, v85 neg_lo:[0,1] neg_hi:[0,1]
	s_mov_b32 s2, 0xbbddbacd
	v_pk_mul_f16 v19, v75, s3
	s_mov_b32 s8, 0x35c83b29
	v_add_f16_e32 v0, v28, v0
	v_pk_add_f16 v17, v17, v18
	v_pk_fma_f16 v18, v86, s2, v19 neg_lo:[0,0,1] neg_hi:[0,0,1]
	s_mov_b32 s3, 0x3b763722
	v_pk_mul_f16 v20, v73, s8
	v_pack_b32_f16 v71, v71, v71
	v_add_f16_e32 v0, v27, v0
	v_pk_add_f16 v18, v88, v18
	v_pk_fma_f16 v21, v89, s3, v20 neg_lo:[0,0,1] neg_hi:[0,0,1]
	s_mov_b32 s9, 0xb836bbf7
	v_add_f16_e32 v0, v26, v0
	v_pk_add_f16 v18, v18, v21
	s_mov_b32 s8, 0xbacd2de8
	v_pk_mul_f16 v21, v71, s9
	v_pack_b32_f16 v70, v70, v70
	v_add_f16_e32 v0, v25, v0
	v_pk_fma_f16 v22, v91, s8, v21 neg_lo:[0,0,1] neg_hi:[0,0,1]
	s_mov_b32 s14, 0x39643a62
	v_add_f16_e32 v0, v24, v0
	v_pk_add_f16 v18, v18, v22
	s_mov_b32 s9, 0x39e9b8d2
	v_pk_mul_f16 v22, v70, s14
	v_pack_b32_f16 v69, v69, v69
	v_add_f16_e32 v0, v23, v0
	v_pk_fma_f16 v23, v93, s9, v22 neg_lo:[0,0,1] neg_hi:[0,0,1]
	s_mov_b32 s15, 0xba62b5c8
	v_pk_add_f16 v18, v18, v23
	s_mov_b32 s14, 0xb8d23b76
	v_pk_mul_f16 v23, v69, s15
	v_pk_fma_f16 v19, v86, s2, v19
	v_pack_b32_f16 v67, v67, v67
	v_pk_fma_f16 v24, v95, s14, v23 neg_lo:[0,0,1] neg_hi:[0,0,1]
	s_mov_b32 s16, 0x3b29b1e1
	v_pk_add_f16 v19, v88, v19
	v_pk_fma_f16 v20, v89, s3, v20
	v_pk_add_f16 v18, v18, v24
	s_mov_b32 s15, 0x3722bbdd
	v_pk_mul_f16 v24, v67, s16
	v_pk_add_f16 v19, v19, v20
	v_pk_fma_f16 v20, v91, s8, v21
	v_pack_b32_f16 v66, v66, v66
	v_pk_fma_f16 v25, v97, s15, v24 neg_lo:[0,0,1] neg_hi:[0,0,1]
	s_mov_b32 s17, 0xbbb23964
	v_pk_add_f16 v19, v19, v20
	v_pk_fma_f16 v20, v93, s9, v22
	v_pk_add_f16 v18, v18, v25
	s_mov_b32 s16, 0xb46139e9
	v_pk_mul_f16 v25, v66, s17
	v_pk_add_f16 v19, v19, v20
	;; [unrolled: 10-line block ×3, first 2 shown]
	v_pk_fma_f16 v20, v99, s16, v25
	v_pk_add_f16 v19, v19, v20
	v_pk_fma_f16 v20, v101, s17, v26
	v_pk_add_f16 v19, v19, v20
	v_lshlrev_b32_e32 v20, 5, v9
	v_pk_fma_f16 v27, v101, s17, v26 neg_lo:[0,0,1] neg_hi:[0,0,1]
	v_add3_u32 v20, v1, v20, v12
	v_pk_add_f16 v18, v18, v27
	ds_write_b16 v20, v0
	v_alignbit_b32 v15, v15, v15, 16
	v_alignbit_b32 v16, v16, v16, 16
	;; [unrolled: 1-line block ×4, first 2 shown]
	ds_write_b128 v20, v[15:18] offset:2
	ds_write_b128 v20, v[0:3] offset:18
.LBB0_19:
	s_or_b64 exec, exec, s[6:7]
	s_waitcnt lgkmcnt(0)
	s_barrier
	ds_read_u16 v1, v31
	ds_read_u16 v16, v14 offset:1768
	ds_read_u16 v15, v14 offset:1530
	;; [unrolled: 1-line block ×11, first 2 shown]
                                        ; implicit-def: $vgpr19
	s_and_saveexec_b64 s[2:3], s[0:1]
	s_cbranch_execz .LBB0_21
; %bb.20:
	ds_read_u16 v2, v14 offset:1734
	ds_read_u16 v3, v14 offset:2176
	;; [unrolled: 1-line block ×6, first 2 shown]
	s_mov_b32 s6, 0x5040100
	s_waitcnt lgkmcnt(4)
	v_perm_b32 v3, v3, v2, s6
	s_waitcnt lgkmcnt(1)
	v_perm_b32 v2, v27, v26, s6
.LBB0_21:
	s_or_b64 exec, exec, s[2:3]
	s_movk_i32 s2, 0xf1
	v_add_u16_e32 v34, 0x66, v9
	v_mul_lo_u16_sdwa v26, v9, s2 dst_sel:DWORD dst_unused:UNUSED_PAD src0_sel:BYTE_0 src1_sel:DWORD
	v_mul_lo_u16_sdwa v35, v34, s2 dst_sel:DWORD dst_unused:UNUSED_PAD src0_sel:BYTE_0 src1_sel:DWORD
	v_lshrrev_b16_e32 v61, 12, v26
	v_lshrrev_b16_e32 v63, 12, v35
	v_mul_lo_u16_e32 v26, 17, v61
	v_mul_lo_u16_e32 v35, 17, v63
	v_sub_u16_e32 v62, v9, v26
	v_mov_b32_e32 v26, 5
	v_sub_u16_e32 v64, v34, v35
	v_mul_u32_u24_sdwa v27, v62, v26 dst_sel:DWORD dst_unused:UNUSED_PAD src0_sel:BYTE_0 src1_sel:DWORD
	v_mul_u32_u24_sdwa v26, v64, v26 dst_sel:DWORD dst_unused:UNUSED_PAD src0_sel:BYTE_0 src1_sel:DWORD
	v_lshlrev_b32_e32 v33, 2, v27
	v_lshlrev_b32_e32 v26, 2, v26
	global_load_dwordx4 v[27:30], v33, s[12:13]
	global_load_dwordx4 v[39:42], v26, s[12:13]
	global_load_dword v36, v33, s[12:13] offset:16
	s_mov_b32 s2, 0xf0f1
	global_load_dword v26, v26, s[12:13] offset:16
	v_add_u32_e32 v33, 0xcc, v9
	v_mul_u32_u24_sdwa v34, v33, s2 dst_sel:DWORD dst_unused:UNUSED_PAD src0_sel:WORD_0 src1_sel:DWORD
	v_lshrrev_b32_e32 v34, 20, v34
	v_mul_lo_u16_e32 v34, 17, v34
	v_sub_u16_e32 v65, v33, v34
	v_mul_u32_u24_e32 v33, 5, v65
	v_lshlrev_b32_e32 v33, 2, v33
	global_load_dwordx4 v[43:46], v33, s[12:13]
	global_load_dword v47, v33, s[12:13] offset:16
	v_lshrrev_b32_e32 v67, 16, v2
	v_lshrrev_b32_e32 v68, 16, v11
	;; [unrolled: 1-line block ×3, first 2 shown]
	s_mov_b32 s7, 0xbaee
	s_movk_i32 s6, 0x3aee
	v_lshrrev_b32_e32 v66, 16, v10
	s_movk_i32 s2, 0xcc
	s_waitcnt vmcnt(0) lgkmcnt(0)
	s_barrier
	v_mul_f16_sdwa v33, v25, v27 dst_sel:DWORD dst_unused:UNUSED_PAD src0_sel:DWORD src1_sel:WORD_1
	v_mul_f16_sdwa v35, v23, v28 dst_sel:DWORD dst_unused:UNUSED_PAD src0_sel:DWORD src1_sel:WORD_1
	v_mul_f16_sdwa v37, v58, v28 dst_sel:DWORD dst_unused:UNUSED_PAD src0_sel:DWORD src1_sel:WORD_1
	v_mul_f16_sdwa v38, v22, v29 dst_sel:DWORD dst_unused:UNUSED_PAD src0_sel:DWORD src1_sel:WORD_1
	v_mul_f16_sdwa v71, v16, v30 dst_sel:DWORD dst_unused:UNUSED_PAD src0_sel:DWORD src1_sel:WORD_1
	v_mul_f16_sdwa v72, v51, v30 dst_sel:DWORD dst_unused:UNUSED_PAD src0_sel:DWORD src1_sel:WORD_1
	v_mul_f16_sdwa v82, v56, v42 dst_sel:DWORD dst_unused:UNUSED_PAD src0_sel:DWORD src1_sel:WORD_1
	v_mul_f16_sdwa v34, v60, v27 dst_sel:DWORD dst_unused:UNUSED_PAD src0_sel:DWORD src1_sel:WORD_1
	v_mul_f16_sdwa v70, v57, v29 dst_sel:DWORD dst_unused:UNUSED_PAD src0_sel:DWORD src1_sel:WORD_1
	v_mul_f16_sdwa v81, v21, v42 dst_sel:DWORD dst_unused:UNUSED_PAD src0_sel:DWORD src1_sel:WORD_1
	v_fma_f16 v60, v60, v27, v33
	v_mul_f16_sdwa v86, v10, v43 dst_sel:DWORD dst_unused:UNUSED_PAD src0_sel:DWORD src1_sel:WORD_1
	v_mul_f16_sdwa v85, v2, v43 dst_sel:DWORD dst_unused:UNUSED_PAD src0_sel:DWORD src1_sel:WORD_1
	;; [unrolled: 1-line block ×4, first 2 shown]
	v_fma_f16 v33, v58, v28, v35
	v_fma_f16 v35, v23, v28, -v37
	v_fma_f16 v57, v57, v29, v38
	v_fma_f16 v37, v51, v30, v71
	v_fma_f16 v38, v16, v30, -v72
	v_fma_f16 v30, v21, v42, -v82
	;; [unrolled: 1-line block ×3, first 2 shown]
	v_mul_f16_sdwa v2, v19, v47 dst_sel:DWORD dst_unused:UNUSED_PAD src0_sel:DWORD src1_sel:WORD_1
	v_mul_f16_sdwa v76, v55, v39 dst_sel:DWORD dst_unused:UNUSED_PAD src0_sel:DWORD src1_sel:WORD_1
	v_mul_f16_sdwa v77, v17, v40 dst_sel:DWORD dst_unused:UNUSED_PAD src0_sel:DWORD src1_sel:WORD_1
	v_mul_f16_sdwa v78, v52, v40 dst_sel:DWORD dst_unused:UNUSED_PAD src0_sel:DWORD src1_sel:WORD_1
	v_mul_f16_sdwa v83, v18, v26 dst_sel:DWORD dst_unused:UNUSED_PAD src0_sel:DWORD src1_sel:WORD_1
	v_mul_f16_sdwa v84, v53, v26 dst_sel:DWORD dst_unused:UNUSED_PAD src0_sel:DWORD src1_sel:WORD_1
	v_fma_f16 v27, v25, v27, -v34
	v_fma_f16 v34, v22, v29, -v70
	v_fma_f16 v11, v11, v45, v89
	v_fma_f16 v22, v3, v45, -v90
	v_fma_f16 v45, v54, v47, v2
	v_mul_f16_sdwa v2, v54, v47 dst_sel:DWORD dst_unused:UNUSED_PAD src0_sel:DWORD src1_sel:WORD_1
	v_mul_f16_sdwa v75, v20, v39 dst_sel:DWORD dst_unused:UNUSED_PAD src0_sel:DWORD src1_sel:WORD_1
	;; [unrolled: 1-line block ×4, first 2 shown]
	v_fma_f16 v16, v20, v39, -v76
	v_fma_f16 v20, v52, v40, v77
	v_fma_f16 v17, v17, v40, -v78
	v_fma_f16 v40, v53, v26, v83
	v_fma_f16 v18, v18, v26, -v84
	v_fma_f16 v26, v19, v47, -v2
	v_add_f16_e32 v2, v49, v33
	v_fma_f16 v55, v55, v39, v75
	v_fma_f16 v39, v50, v41, v79
	v_fma_f16 v15, v15, v41, -v80
	v_add_f16_e32 v41, v2, v37
	v_add_f16_e32 v2, v33, v37
	v_mul_f16_sdwa v73, v24, v36 dst_sel:DWORD dst_unused:UNUSED_PAD src0_sel:DWORD src1_sel:WORD_1
	v_fma_f16 v2, v2, -0.5, v49
	v_sub_f16_e32 v3, v35, v38
	v_mul_f16_sdwa v74, v59, v36 dst_sel:DWORD dst_unused:UNUSED_PAD src0_sel:DWORD src1_sel:WORD_1
	v_mul_f16_sdwa v91, v69, v46 dst_sel:DWORD dst_unused:UNUSED_PAD src0_sel:DWORD src1_sel:WORD_1
	;; [unrolled: 1-line block ×3, first 2 shown]
	v_fma_f16 v51, v59, v36, v73
	v_fma_f16 v23, v56, v42, v81
	;; [unrolled: 1-line block ×5, first 2 shown]
	v_add_f16_e32 v2, v60, v57
	v_fma_f16 v36, v24, v36, -v74
	v_fma_f16 v28, v68, v46, v91
	v_fma_f16 v29, v69, v46, -v92
	v_add_f16_e32 v46, v2, v51
	v_add_f16_e32 v2, v57, v51
	v_fma_f16 v2, v2, -0.5, v60
	v_sub_f16_e32 v19, v34, v36
	v_fma_f16 v3, v19, s7, v2
	v_fma_f16 v2, v19, s6, v2
	v_add_f16_e32 v19, v34, v36
	v_mul_f16_sdwa v87, v67, v44 dst_sel:DWORD dst_unused:UNUSED_PAD src0_sel:DWORD src1_sel:WORD_1
	v_mul_f16_sdwa v88, v66, v44 dst_sel:DWORD dst_unused:UNUSED_PAD src0_sel:DWORD src1_sel:WORD_1
	v_fma_f16 v19, v19, -0.5, v27
	v_sub_f16_e32 v47, v57, v51
	v_fma_f16 v24, v66, v44, v87
	v_fma_f16 v25, v67, v44, -v88
	v_fma_f16 v44, v47, s6, v19
	v_fma_f16 v19, v47, s7, v19
	v_mul_f16_e32 v47, 0xbaee, v44
	v_fma_f16 v47, v3, 0.5, v47
	v_add_f16_e32 v52, v42, v47
	v_sub_f16_e32 v56, v42, v47
	v_add_f16_e32 v42, v20, v23
	v_add_f16_e32 v50, v41, v46
	v_sub_f16_e32 v54, v41, v46
	v_fma_f16 v42, v42, -0.5, v48
	v_sub_f16_e32 v46, v17, v30
	v_mul_f16_e32 v49, 0xbaee, v19
	v_add_f16_e32 v41, v48, v20
	v_fma_f16 v48, v46, s7, v42
	v_fma_f16 v42, v46, s6, v42
	v_add_f16_e32 v46, v55, v39
	v_fma_f16 v49, v2, -0.5, v49
	v_add_f16_e32 v57, v46, v40
	v_add_f16_e32 v46, v39, v40
	;; [unrolled: 1-line block ×3, first 2 shown]
	v_sub_f16_e32 v43, v43, v49
	v_fma_f16 v46, v46, -0.5, v55
	v_sub_f16_e32 v49, v15, v18
	v_fma_f16 v47, v49, s7, v46
	v_fma_f16 v46, v49, s6, v46
	v_add_f16_e32 v49, v15, v18
	v_fma_f16 v49, v49, -0.5, v16
	v_sub_f16_e32 v39, v39, v40
	v_fma_f16 v51, v39, s6, v49
	v_fma_f16 v49, v39, s7, v49
	v_mul_f16_e32 v39, 0xbaee, v51
	v_fma_f16 v39, v47, 0.5, v39
	v_add_f16_e32 v41, v41, v23
	v_add_f16_e32 v58, v48, v39
	v_mul_f16_e32 v40, 0xbaee, v49
	v_sub_f16_e32 v60, v48, v39
	v_add_f16_e32 v39, v11, v45
	v_add_f16_e32 v55, v41, v57
	v_fma_f16 v40, v46, -0.5, v40
	v_sub_f16_e32 v57, v41, v57
	v_fma_f16 v39, v39, -0.5, v10
	v_sub_f16_e32 v41, v22, v26
	v_add_f16_e32 v59, v42, v40
	v_sub_f16_e32 v66, v42, v40
	v_fma_f16 v40, v41, s7, v39
	v_fma_f16 v39, v41, s6, v39
	v_add_f16_e32 v41, v22, v26
	v_fma_f16 v41, v41, -0.5, v21
	v_sub_f16_e32 v48, v11, v45
	v_fma_f16 v42, v48, s6, v41
	v_fma_f16 v41, v48, s7, v41
	v_mad_u32_u24 v48, v61, s2, 0
	v_mov_b32_e32 v61, 1
	v_lshlrev_b32_sdwa v62, v61, v62 dst_sel:DWORD dst_unused:UNUSED_PAD src0_sel:DWORD src1_sel:BYTE_0
	v_add3_u32 v48, v48, v62, v12
	ds_write_b16 v48, v50
	ds_write_b16 v48, v52 offset:34
	ds_write_b16 v48, v53 offset:68
	;; [unrolled: 1-line block ×5, first 2 shown]
	v_mad_u32_u24 v43, v63, s2, 0
	v_lshlrev_b32_sdwa v50, v61, v64 dst_sel:DWORD dst_unused:UNUSED_PAD src0_sel:DWORD src1_sel:BYTE_0
	v_add3_u32 v50, v43, v50, v12
	v_lshlrev_b32_e32 v43, 1, v65
	ds_write_b16 v50, v55
	ds_write_b16 v50, v58 offset:34
	ds_write_b16 v50, v59 offset:68
	;; [unrolled: 1-line block ×5, first 2 shown]
	s_and_saveexec_b64 s[2:3], s[0:1]
	s_cbranch_execz .LBB0_23
; %bb.22:
	v_add_f16_e32 v52, v24, v28
	v_fma_f16 v52, v52, -0.5, v13
	v_sub_f16_e32 v53, v25, v29
	v_add_f16_e32 v13, v13, v24
	v_add_f16_e32 v10, v10, v11
	v_fma_f16 v54, v53, s6, v52
	v_mul_f16_e32 v55, 0xbaee, v41
	v_fma_f16 v52, v53, s7, v52
	v_mul_f16_e32 v53, 0xbaee, v42
	v_add_f16_e32 v13, v13, v28
	v_add_f16_e32 v10, v10, v45
	v_fma_f16 v55, v39, -0.5, v55
	v_fma_f16 v53, v40, 0.5, v53
	v_sub_f16_e32 v11, v13, v10
	v_add_f16_e32 v10, v13, v10
	v_add3_u32 v13, 0, v43, v12
	v_sub_f16_e32 v56, v54, v55
	v_sub_f16_e32 v57, v52, v53
	v_add_f16_e32 v45, v54, v55
	v_add_f16_e32 v52, v52, v53
	ds_write_b16 v13, v10 offset:2448
	ds_write_b16 v13, v52 offset:2482
	;; [unrolled: 1-line block ×6, first 2 shown]
.LBB0_23:
	s_or_b64 exec, exec, s[2:3]
	v_add_f16_e32 v11, v35, v38
	v_add_f16_e32 v10, v1, v35
	v_fma_f16 v1, v11, -0.5, v1
	v_sub_f16_e32 v11, v33, v37
	v_fma_f16 v13, v11, s6, v1
	v_fma_f16 v1, v11, s7, v1
	v_add_f16_e32 v11, v27, v34
	v_mul_f16_e32 v27, 0.5, v44
	v_fma_f16 v3, v3, s6, v27
	v_mul_f16_e32 v19, -0.5, v19
	v_add_f16_e32 v34, v13, v3
	v_fma_f16 v2, v2, s6, v19
	v_sub_f16_e32 v37, v13, v3
	v_add_f16_e32 v3, v17, v30
	v_add_f16_e32 v10, v10, v38
	;; [unrolled: 1-line block ×4, first 2 shown]
	v_sub_f16_e32 v1, v1, v2
	v_add_f16_e32 v2, v0, v17
	v_fma_f16 v0, v3, -0.5, v0
	v_sub_f16_e32 v3, v20, v23
	v_add_f16_e32 v33, v10, v11
	v_sub_f16_e32 v36, v10, v11
	v_fma_f16 v10, v3, s6, v0
	v_fma_f16 v0, v3, s7, v0
	v_add_f16_e32 v3, v16, v15
	v_mul_f16_e32 v11, 0.5, v51
	v_mul_f16_e32 v13, -0.5, v49
	v_add_f16_e32 v2, v2, v30
	v_add_f16_e32 v3, v3, v18
	v_fma_f16 v11, v47, s6, v11
	v_fma_f16 v13, v46, s6, v13
	v_add_f16_e32 v30, v2, v3
	v_add_f16_e32 v38, v10, v11
	;; [unrolled: 1-line block ×3, first 2 shown]
	v_sub_f16_e32 v45, v2, v3
	v_sub_f16_e32 v46, v10, v11
	;; [unrolled: 1-line block ×3, first 2 shown]
	s_waitcnt lgkmcnt(0)
	s_barrier
	ds_read_u16 v2, v31
	ds_read_u16 v19, v14 offset:204
	ds_read_u16 v17, v14 offset:408
	;; [unrolled: 1-line block ×12, first 2 shown]
	s_waitcnt lgkmcnt(0)
	s_barrier
	ds_write_b16 v48, v33
	ds_write_b16 v48, v34 offset:34
	ds_write_b16 v48, v35 offset:68
	;; [unrolled: 1-line block ×5, first 2 shown]
	ds_write_b16 v50, v30
	ds_write_b16 v50, v38 offset:34
	ds_write_b16 v50, v44 offset:68
	;; [unrolled: 1-line block ×5, first 2 shown]
	s_and_saveexec_b64 s[2:3], s[0:1]
	s_cbranch_execz .LBB0_25
; %bb.24:
	v_add_f16_e32 v1, v25, v29
	v_add_f16_e32 v0, v32, v25
	v_fma_f16 v1, v1, -0.5, v32
	v_sub_f16_e32 v24, v24, v28
	s_movk_i32 s0, 0x3aee
	s_mov_b32 s1, 0xbaee
	v_add_f16_e32 v21, v21, v22
	v_add_f16_e32 v0, v0, v29
	v_fma_f16 v25, v24, s0, v1
	v_fma_f16 v1, v24, s1, v1
	v_add_f16_e32 v21, v21, v26
	v_mul_f16_e32 v24, 0.5, v42
	v_mul_f16_e32 v28, -0.5, v41
	v_add_f16_e32 v22, v0, v21
	v_fma_f16 v24, v40, s0, v24
	v_fma_f16 v28, v39, s0, v28
	v_add3_u32 v12, 0, v43, v12
	v_add_f16_e32 v26, v25, v24
	v_add_f16_e32 v29, v1, v28
	v_sub_f16_e32 v0, v0, v21
	v_sub_f16_e32 v21, v25, v24
	;; [unrolled: 1-line block ×3, first 2 shown]
	ds_write_b16 v12, v22 offset:2448
	ds_write_b16 v12, v26 offset:2482
	;; [unrolled: 1-line block ×6, first 2 shown]
.LBB0_25:
	s_or_b64 exec, exec, s[2:3]
	s_waitcnt lgkmcnt(0)
	s_barrier
	s_and_saveexec_b64 s[0:1], vcc
	s_cbranch_execz .LBB0_27
; %bb.26:
	v_mul_u32_u24_e32 v0, 12, v9
	v_lshlrev_b32_e32 v9, 2, v0
	global_load_dwordx4 v[32:35], v9, s[12:13] offset:340
	global_load_dwordx4 v[36:39], v9, s[12:13] offset:372
	;; [unrolled: 1-line block ×3, first 2 shown]
	v_mul_lo_u32 v12, s5, v7
	v_mul_lo_u32 v8, s4, v8
	v_mad_u64_u32 v[0:1], s[0:1], s4, v7, 0
	ds_read_u16 v7, v14 offset:408
	ds_read_u16 v9, v14 offset:612
	;; [unrolled: 1-line block ×7, first 2 shown]
	ds_read_u16 v28, v31
	ds_read_u16 v29, v14 offset:2448
	ds_read_u16 v30, v14 offset:2244
	ds_read_u16 v31, v14 offset:2040
	ds_read_u16 v44, v14 offset:1836
	ds_read_u16 v14, v14 offset:1632
	v_add3_u32 v1, v1, v8, v12
	s_mov_b32 s0, 0xb9fd
	s_movk_i32 s3, 0x2fb7
	s_movk_i32 s4, 0x388b
	s_mov_b32 s2, 0xbbc4
	s_movk_i32 s8, 0x3b15
	s_mov_b32 s9, 0xb5ac
	;; [unrolled: 2-line block ×3, first 2 shown]
	s_mov_b32 s16, 0xb770
	s_movk_i32 s6, 0x3bf1
	s_mov_b32 s14, 0xb3a8
	s_mov_b32 s5, 0xba95
	s_movk_i32 s7, 0x33a8
	s_mov_b32 s12, 0xbb7b
	s_movk_i32 s15, 0x3a95
	s_movk_i32 s18, 0x394e
	;; [unrolled: 1-line block ×3, first 2 shown]
	s_mov_b32 s17, 0xbbf1
	v_lshlrev_b64 v[0:1], 2, v[0:1]
	s_waitcnt vmcnt(2)
	v_lshrrev_b32_e32 v8, 16, v32
	v_mul_f16_e32 v47, v19, v32
	s_waitcnt vmcnt(1)
	v_lshrrev_b32_e32 v51, 16, v39
	v_mul_f16_e32 v52, v27, v39
	v_lshrrev_b32_e32 v12, 16, v33
	v_lshrrev_b32_e32 v45, 16, v34
	;; [unrolled: 1-line block ×4, first 2 shown]
	v_mul_f16_e32 v53, v17, v33
	v_mul_f16_e32 v54, v23, v38
	;; [unrolled: 1-line block ×4, first 2 shown]
	s_waitcnt lgkmcnt(6)
	v_fma_f16 v47, v26, v8, v47
	s_waitcnt lgkmcnt(4)
	v_fma_f16 v52, v29, v51, v52
	v_mul_f16_e32 v27, v27, v51
	v_mul_f16_e32 v8, v19, v8
	v_lshrrev_b32_e32 v48, 16, v36
	v_lshrrev_b32_e32 v49, 16, v37
	v_fma_f16 v19, v7, v12, v53
	s_waitcnt lgkmcnt(3)
	v_fma_f16 v51, v30, v50, v54
	v_mul_f16_e32 v23, v23, v50
	v_mul_f16_e32 v12, v17, v12
	v_fma_f16 v17, v9, v45, v55
	v_mul_f16_e32 v16, v16, v45
	v_fma_f16 v45, v21, v46, v57
	v_mul_f16_e32 v15, v15, v46
	v_sub_f16_e32 v46, v47, v52
	v_fma_f16 v27, v29, v39, -v27
	v_fma_f16 v8, v26, v32, -v8
	v_mul_f16_e32 v56, v20, v37
	v_mul_f16_e32 v58, v18, v36
	;; [unrolled: 1-line block ×4, first 2 shown]
	v_sub_f16_e32 v26, v19, v51
	v_fma_f16 v23, v30, v38, -v23
	v_fma_f16 v7, v7, v33, -v12
	;; [unrolled: 1-line block ×3, first 2 shown]
	v_mul_f16_e32 v21, 0xb94e, v46
	v_add_f16_e32 v29, v8, v27
	s_waitcnt lgkmcnt(2)
	v_fma_f16 v50, v31, v49, v56
	v_fma_f16 v20, v31, v37, -v20
	s_waitcnt lgkmcnt(1)
	v_fma_f16 v18, v44, v36, -v18
	v_mul_f16_e32 v30, 0x3bf1, v26
	v_add_f16_e32 v31, v7, v23
	v_fma_f16 v36, v29, s0, v21
	v_fma_f16 v37, v31, s3, v30
	v_add_f16_e32 v36, v28, v36
	v_fma_f16 v49, v44, v48, v58
	v_sub_f16_e32 v12, v17, v50
	v_fma_f16 v9, v9, v34, -v16
	v_add_f16_e32 v36, v36, v37
	s_waitcnt vmcnt(0)
	v_lshrrev_b32_e32 v37, 16, v40
	v_lshrrev_b32_e32 v44, 16, v43
	v_mul_f16_e32 v48, v11, v40
	v_mul_f16_e32 v53, v13, v43
	v_sub_f16_e32 v16, v45, v49
	v_mul_f16_e32 v32, 0xba95, v12
	v_add_f16_e32 v33, v9, v20
	v_fma_f16 v48, v22, v37, v48
	s_waitcnt lgkmcnt(0)
	v_fma_f16 v53, v14, v44, v53
	v_mul_f16_e32 v13, v13, v44
	v_mul_f16_e32 v11, v11, v37
	;; [unrolled: 1-line block ×3, first 2 shown]
	v_add_f16_e32 v35, v15, v18
	v_fma_f16 v38, v33, s4, v32
	v_sub_f16_e32 v54, v48, v53
	v_fma_f16 v13, v14, v43, -v13
	v_fma_f16 v11, v22, v40, -v11
	v_fma_f16 v39, v35, s2, v34
	v_add_f16_e32 v36, v36, v38
	v_mul_f16_e32 v55, 0x3770, v54
	v_add_f16_e32 v14, v11, v13
	v_add_f16_e32 v36, v36, v39
	v_fma_f16 v22, v14, s8, v55
	v_lshrrev_b32_e32 v38, 16, v41
	v_lshrrev_b32_e32 v39, 16, v42
	v_add_f16_e32 v22, v36, v22
	v_mul_f16_e32 v36, v3, v41
	v_mul_f16_e32 v37, v10, v42
	v_fma_f16 v36, v24, v38, v36
	v_fma_f16 v37, v25, v39, v37
	v_mul_f16_e32 v10, v10, v39
	v_mul_f16_e32 v3, v3, v38
	v_sub_f16_e32 v40, v36, v37
	v_fma_f16 v10, v25, v42, -v10
	v_fma_f16 v3, v24, v41, -v3
	v_mul_f16_e32 v43, 0xbb7b, v40
	v_add_f16_e32 v24, v3, v10
	v_fma_f16 v25, v24, s9, v43
	v_sub_f16_e32 v38, v8, v27
	v_add_f16_e32 v22, v22, v25
	v_add_f16_e32 v25, v47, v52
	v_mul_f16_e32 v39, 0xb94e, v38
	v_sub_f16_e32 v44, v7, v23
	v_fma_f16 v41, v25, s0, -v39
	v_add_f16_e32 v42, v19, v51
	v_mul_f16_e32 v56, 0x3bf1, v44
	v_add_f16_e32 v41, v2, v41
	v_fma_f16 v57, v42, s3, -v56
	v_sub_f16_e32 v58, v9, v20
	v_add_f16_e32 v41, v41, v57
	v_add_f16_e32 v57, v17, v50
	v_mul_f16_e32 v59, 0xba95, v58
	v_fma_f16 v60, v57, s4, -v59
	v_sub_f16_e32 v61, v15, v18
	v_add_f16_e32 v41, v41, v60
	v_add_f16_e32 v60, v45, v49
	v_mul_f16_e32 v62, 0x33a8, v61
	;; [unrolled: 5-line block ×3, first 2 shown]
	v_fma_f16 v66, v63, s8, -v65
	v_sub_f16_e32 v67, v3, v10
	v_fma_f16 v21, v29, s0, -v21
	v_add_f16_e32 v41, v41, v66
	v_add_f16_e32 v66, v36, v37
	v_mul_f16_e32 v68, 0xbb7b, v67
	v_add_f16_e32 v21, v28, v21
	v_fma_f16 v30, v31, s3, -v30
	v_fma_f16 v69, v66, s9, -v68
	v_add_f16_e32 v21, v21, v30
	v_fma_f16 v30, v33, s4, -v32
	v_add_f16_e32 v41, v41, v69
	v_mul_f16_e32 v69, 0xb3a8, v46
	v_add_f16_e32 v21, v21, v30
	v_fma_f16 v30, v35, s2, -v34
	v_fma_f16 v70, v29, s2, v69
	v_mul_f16_e32 v71, 0x3770, v26
	v_add_f16_e32 v21, v21, v30
	v_fma_f16 v30, v14, s8, -v55
	v_add_f16_e32 v70, v28, v70
	v_fma_f16 v72, v31, s8, v71
	v_add_f16_e32 v21, v21, v30
	v_fma_f16 v30, v24, s9, -v43
	v_add_f16_e32 v70, v70, v72
	v_mul_f16_e32 v72, 0xb94e, v12
	v_add_f16_e32 v21, v21, v30
	v_fma_f16 v30, v25, s0, v39
	v_fma_f16 v73, v33, s0, v72
	v_add_f16_e32 v30, v2, v30
	v_fma_f16 v32, v42, s3, v56
	v_add_f16_e32 v70, v70, v73
	v_mul_f16_e32 v73, 0x3a95, v16
	v_add_f16_e32 v30, v30, v32
	v_fma_f16 v32, v57, s4, v59
	v_fma_f16 v74, v35, s4, v73
	v_add_f16_e32 v30, v30, v32
	v_fma_f16 v32, v60, s2, v62
	;; [unrolled: 7-line block ×3, first 2 shown]
	v_add_f16_e32 v70, v70, v75
	v_mul_f16_e32 v75, 0x3bf1, v40
	v_add_f16_e32 v30, v30, v32
	v_mul_f16_e32 v32, 0xb5ac, v29
	v_fma_f16 v76, v24, s3, v75
	v_fma_f16 v69, v29, s2, -v69
	v_fma_f16 v34, v46, s19, v32
	v_mul_f16_e32 v39, 0xb9fd, v31
	v_add_f16_e32 v70, v70, v76
	v_mul_f16_e32 v76, 0xb3a8, v38
	v_add_f16_e32 v69, v28, v69
	v_fma_f16 v71, v31, s8, -v71
	v_add_f16_e32 v34, v28, v34
	v_fma_f16 v43, v26, s1, v39
	v_fma_f16 v77, v25, s2, -v76
	v_mul_f16_e32 v78, 0x3770, v44
	v_add_f16_e32 v69, v69, v71
	v_fma_f16 v71, v33, s0, -v72
	v_add_f16_e32 v34, v34, v43
	v_mul_f16_e32 v43, 0x3b15, v33
	v_add_f16_e32 v77, v2, v77
	v_fma_f16 v79, v42, s8, -v78
	v_add_f16_e32 v69, v69, v71
	v_fma_f16 v71, v35, s4, -v73
	v_fma_f16 v55, v12, s16, v43
	v_add_f16_e32 v77, v77, v79
	v_mul_f16_e32 v79, 0xb94e, v58
	v_add_f16_e32 v69, v69, v71
	v_fma_f16 v71, v14, s9, -v74
	v_add_f16_e32 v34, v34, v55
	v_mul_f16_e32 v55, 0x2fb7, v35
	v_fma_f16 v80, v57, s0, -v79
	v_add_f16_e32 v69, v69, v71
	v_fma_f16 v71, v24, s3, -v75
	v_fma_f16 v56, v16, s6, v55
	v_add_f16_e32 v77, v77, v80
	v_mul_f16_e32 v80, 0x3a95, v61
	v_add_f16_e32 v69, v69, v71
	v_fma_f16 v71, v25, s2, v76
	v_add_f16_e32 v34, v34, v56
	v_mul_f16_e32 v56, 0xbbc4, v14
	v_fma_f16 v81, v60, s4, -v80
	v_add_f16_e32 v71, v2, v71
	v_fma_f16 v72, v42, s8, v78
	v_fma_f16 v59, v54, s14, v56
	v_add_f16_e32 v77, v77, v81
	v_mul_f16_e32 v81, 0xbb7b, v64
	v_add_f16_e32 v71, v71, v72
	v_fma_f16 v72, v57, s0, v79
	v_add_f16_e32 v34, v34, v59
	v_mul_f16_e32 v59, 0x388b, v24
	v_fma_f16 v82, v63, s9, -v81
	v_add_f16_e32 v71, v71, v72
	v_fma_f16 v72, v60, s4, v80
	v_fma_f16 v62, v40, s5, v59
	v_add_f16_e32 v77, v77, v82
	v_mul_f16_e32 v82, 0x3bf1, v67
	v_add_f16_e32 v71, v71, v72
	v_fma_f16 v72, v63, s9, v81
	v_add_f16_e32 v34, v34, v62
	v_mul_f16_e32 v62, 0xbb7b, v38
	v_add_f16_e32 v71, v71, v72
	v_fma_f16 v72, v66, s3, v82
	v_fma_f16 v65, v25, s9, v62
	v_mul_f16_e32 v68, 0x394e, v44
	v_add_f16_e32 v71, v71, v72
	v_add_f16_e32 v65, v2, v65
	v_fma_f16 v72, v42, s0, v68
	v_add_f16_e32 v65, v65, v72
	v_mul_f16_e32 v72, 0x3770, v58
	v_fma_f16 v73, v57, s8, v72
	v_add_f16_e32 v65, v65, v73
	v_mul_f16_e32 v73, 0xbbf1, v61
	;; [unrolled: 3-line block ×5, first 2 shown]
	v_fma_f16 v78, v46, s6, v76
	v_mul_f16_e32 v79, 0xbbc4, v31
	v_add_f16_e32 v78, v28, v78
	v_fma_f16 v80, v26, s7, v79
	v_add_f16_e32 v78, v78, v80
	v_mul_f16_e32 v80, 0xb5ac, v33
	v_add_f16_e32 v8, v8, v28
	v_fma_f16 v81, v12, s12, v80
	v_add_f16_e32 v7, v8, v7
	v_add_f16_e32 v78, v78, v81
	v_mul_f16_e32 v81, 0x3b15, v35
	v_add_f16_e32 v7, v7, v9
	v_fma_f16 v83, v66, s3, -v82
	v_fma_f16 v82, v16, s16, v81
	v_add_f16_e32 v7, v7, v15
	v_add_f16_e32 v78, v78, v82
	v_mul_f16_e32 v82, 0x388b, v14
	v_add_f16_e32 v7, v7, v11
	v_add_f16_e32 v77, v77, v83
	v_fma_f16 v83, v54, s15, v82
	v_add_f16_e32 v3, v7, v3
	v_fma_f16 v7, v46, s12, v32
	v_add_f16_e32 v78, v78, v83
	v_mul_f16_e32 v83, 0xb9fd, v24
	v_add_f16_e32 v7, v28, v7
	v_fma_f16 v8, v26, s18, v39
	v_fma_f16 v84, v40, s18, v83
	v_add_f16_e32 v7, v7, v8
	v_fma_f16 v8, v12, s13, v43
	v_add_f16_e32 v78, v78, v84
	v_mul_f16_e32 v84, 0xbbf1, v38
	v_add_f16_e32 v7, v7, v8
	v_fma_f16 v8, v16, s17, v55
	v_fma_f16 v85, v25, s3, v84
	v_mul_f16_e32 v86, 0xb3a8, v44
	v_add_f16_e32 v7, v7, v8
	v_fma_f16 v8, v54, s7, v56
	v_add_f16_e32 v85, v2, v85
	v_fma_f16 v87, v42, s2, v86
	;; [unrolled: 2-line block ×3, first 2 shown]
	v_add_f16_e32 v85, v85, v87
	v_mul_f16_e32 v87, 0x3b7b, v58
	v_add_f16_e32 v8, v7, v8
	v_fma_f16 v7, v25, s9, -v62
	v_fma_f16 v88, v57, s9, v87
	v_add_f16_e32 v7, v2, v7
	v_fma_f16 v9, v42, s0, -v68
	v_add_f16_e32 v85, v85, v88
	v_mul_f16_e32 v88, 0x3770, v61
	v_add_f16_e32 v7, v7, v9
	v_fma_f16 v9, v57, s8, -v72
	v_fma_f16 v89, v60, s8, v88
	v_add_f16_e32 v7, v7, v9
	v_fma_f16 v9, v60, s3, -v73
	v_add_f16_e32 v85, v85, v89
	v_mul_f16_e32 v89, 0xba95, v64
	v_add_f16_e32 v7, v7, v9
	v_fma_f16 v9, v63, s2, -v74
	v_fma_f16 v90, v63, s4, v89
	v_add_f16_e32 v7, v7, v9
	v_fma_f16 v9, v66, s4, -v75
	v_add_f16_e32 v85, v85, v90
	v_mul_f16_e32 v90, 0xb94e, v67
	v_add_f16_e32 v9, v7, v9
	v_fma_f16 v7, v46, s17, v76
	v_fma_f16 v91, v66, s0, v90
	v_add_f16_e32 v3, v3, v10
	v_add_f16_e32 v7, v28, v7
	v_fma_f16 v10, v26, s14, v79
	v_add_f16_e32 v85, v85, v91
	v_mul_f16_e32 v91, 0x388b, v29
	v_add_f16_e32 v7, v7, v10
	v_fma_f16 v10, v12, s19, v80
	v_fma_f16 v92, v46, s15, v91
	v_mul_f16_e32 v93, 0xb5ac, v31
	v_add_f16_e32 v7, v7, v10
	v_fma_f16 v10, v16, s13, v81
	v_add_f16_e32 v92, v28, v92
	v_fma_f16 v94, v26, s19, v93
	;; [unrolled: 2-line block ×3, first 2 shown]
	v_add_f16_e32 v92, v92, v94
	v_mul_f16_e32 v94, 0xbbc4, v33
	v_add_f16_e32 v7, v7, v10
	v_fma_f16 v10, v40, s1, v83
	v_fma_f16 v95, v12, s7, v94
	v_add_f16_e32 v10, v7, v10
	v_fma_f16 v7, v25, s3, -v84
	v_add_f16_e32 v92, v92, v95
	v_mul_f16_e32 v95, 0xb9fd, v35
	v_add_f16_e32 v7, v2, v7
	v_fma_f16 v11, v42, s2, -v86
	v_fma_f16 v96, v16, s1, v95
	v_add_f16_e32 v7, v7, v11
	v_fma_f16 v11, v57, s9, -v87
	v_add_f16_e32 v92, v92, v96
	v_mul_f16_e32 v96, 0x2fb7, v14
	v_add_f16_e32 v7, v7, v11
	v_fma_f16 v11, v60, s8, -v88
	;; [unrolled: 7-line block ×3, first 2 shown]
	v_fma_f16 v98, v40, s16, v97
	v_add_f16_e32 v11, v7, v11
	v_fma_f16 v7, v46, s5, v91
	v_add_f16_e32 v92, v92, v98
	v_mul_f16_e32 v98, 0xba95, v38
	v_add_f16_e32 v3, v13, v3
	v_add_f16_e32 v7, v28, v7
	v_fma_f16 v13, v26, s12, v93
	v_fma_f16 v99, v25, s4, v98
	v_mul_f16_e32 v100, 0xbb7b, v44
	v_add_f16_e32 v7, v7, v13
	v_fma_f16 v13, v12, s14, v94
	v_add_f16_e32 v99, v2, v99
	v_fma_f16 v101, v42, s9, v100
	;; [unrolled: 2-line block ×3, first 2 shown]
	v_add_f16_e32 v99, v99, v101
	v_mul_f16_e32 v101, 0xb3a8, v58
	v_add_f16_e32 v7, v7, v13
	v_fma_f16 v13, v54, s6, v96
	v_fma_f16 v102, v57, s2, v101
	v_add_f16_e32 v7, v7, v13
	v_fma_f16 v13, v40, s13, v97
	v_add_f16_e32 v99, v99, v102
	v_mul_f16_e32 v102, 0x394e, v61
	v_add_f16_e32 v13, v7, v13
	v_fma_f16 v7, v25, s4, -v98
	v_fma_f16 v103, v60, s0, v102
	v_add_f16_e32 v7, v2, v7
	v_fma_f16 v15, v42, s9, -v100
	v_add_f16_e32 v99, v99, v103
	v_mul_f16_e32 v103, 0x3bf1, v64
	v_add_f16_e32 v7, v7, v15
	v_fma_f16 v15, v57, s2, -v101
	v_fma_f16 v104, v63, s3, v103
	v_add_f16_e32 v7, v7, v15
	v_fma_f16 v15, v60, s0, -v102
	v_add_f16_e32 v99, v99, v104
	v_mul_f16_e32 v104, 0x3770, v67
	v_add_f16_e32 v7, v7, v15
	v_fma_f16 v15, v63, s3, -v103
	v_fma_f16 v105, v66, s8, v104
	v_mul_f16_e32 v29, 0x3b15, v29
	v_add_f16_e32 v7, v7, v15
	v_fma_f16 v15, v66, s8, -v104
	v_add_f16_e32 v99, v99, v105
	v_fma_f16 v105, v46, s13, v29
	v_mul_f16_e32 v31, 0x388b, v31
	v_add_f16_e32 v15, v7, v15
	v_fma_f16 v7, v46, s16, v29
	v_add_f16_e32 v105, v28, v105
	v_fma_f16 v106, v26, s15, v31
	v_mul_f16_e32 v33, 0x2fb7, v33
	v_add_f16_e32 v3, v18, v3
	v_add_f16_e32 v7, v28, v7
	v_fma_f16 v18, v26, s5, v31
	v_add_f16_e32 v105, v105, v106
	v_fma_f16 v106, v12, s6, v33
	v_mul_f16_e32 v35, 0xb5ac, v35
	v_add_f16_e32 v7, v7, v18
	v_fma_f16 v12, v12, s17, v33
	v_add_f16_e32 v105, v105, v106
	v_fma_f16 v106, v16, s19, v35
	v_mul_f16_e32 v14, 0xb9fd, v14
	;; [unrolled: 5-line block ×3, first 2 shown]
	v_add_f16_e32 v47, v2, v47
	v_add_f16_e32 v7, v7, v12
	v_fma_f16 v12, v54, s1, v14
	v_add_f16_e32 v105, v105, v106
	v_fma_f16 v106, v40, s7, v24
	v_mul_f16_e32 v38, 0xb770, v38
	v_add_f16_e32 v19, v47, v19
	v_add_f16_e32 v7, v7, v12
	v_fma_f16 v12, v40, s14, v24
	v_add_f16_e32 v105, v105, v106
	v_fma_f16 v106, v25, s8, v38
	v_mul_f16_e32 v44, 0xba95, v44
	v_add_f16_e32 v17, v19, v17
	v_add_f16_e32 v12, v7, v12
	v_fma_f16 v7, v25, s8, -v38
	v_add_f16_e32 v106, v2, v106
	v_mul_f16_e32 v58, 0xbbf1, v58
	v_add_f16_e32 v17, v17, v45
	v_add_f16_e32 v2, v2, v7
	v_fma_f16 v7, v42, s4, -v44
	v_mul_f16_e32 v61, 0xbb7b, v61
	v_add_f16_e32 v17, v17, v48
	v_add_f16_e32 v2, v2, v7
	v_fma_f16 v7, v57, s3, -v58
	;; [unrolled: 4-line block ×3, first 2 shown]
	v_mov_b32_e32 v14, s11
	v_add_co_u32_e32 v16, vcc, s10, v0
	v_mul_f16_e32 v67, 0xb3a8, v67
	v_add_f16_e32 v17, v17, v37
	v_add_f16_e32 v2, v2, v7
	v_fma_f16 v7, v63, s0, -v64
	v_addc_co_u32_e32 v14, vcc, v14, v1, vcc
	v_lshlrev_b64 v[0:1], 2, v[4:5]
	v_fma_f16 v107, v42, s4, v44
	v_add_f16_e32 v17, v53, v17
	v_add_f16_e32 v2, v2, v7
	v_fma_f16 v7, v66, s2, -v67
	v_add_f16_e32 v106, v106, v107
	v_fma_f16 v107, v57, s3, v58
	v_add_f16_e32 v17, v49, v17
	v_add_f16_e32 v2, v2, v7
	v_mov_b32_e32 v7, 0
	v_add_co_u32_e32 v4, vcc, v16, v0
	v_add_f16_e32 v106, v106, v107
	v_fma_f16 v107, v60, s9, v61
	v_add_f16_e32 v17, v50, v17
	v_add_f16_e32 v3, v20, v3
	v_addc_co_u32_e32 v5, vcc, v14, v1, vcc
	v_lshlrev_b64 v[0:1], 2, v[6:7]
	v_add_f16_e32 v106, v106, v107
	v_fma_f16 v107, v63, s0, v64
	v_add_f16_e32 v17, v51, v17
	v_add_f16_e32 v3, v23, v3
	;; [unrolled: 1-line block ×3, first 2 shown]
	v_fma_f16 v107, v66, s2, v67
	v_add_f16_e32 v17, v52, v17
	v_add_f16_e32 v3, v27, v3
	v_add_co_u32_e32 v0, vcc, v4, v0
	v_add_f16_e32 v106, v106, v107
	v_addc_co_u32_e32 v1, vcc, v5, v1, vcc
	v_pack_b32_f16 v3, v17, v3
	global_store_dword v[0:1], v3, off
	v_pack_b32_f16 v3, v106, v105
	global_store_dword v[0:1], v3, off offset:408
	v_pack_b32_f16 v3, v99, v92
	global_store_dword v[0:1], v3, off offset:816
	;; [unrolled: 2-line block ×10, first 2 shown]
	v_add_co_u32_e32 v0, vcc, 0x1000, v0
	v_pack_b32_f16 v3, v15, v13
	v_addc_co_u32_e32 v1, vcc, 0, v1, vcc
	v_pack_b32_f16 v2, v2, v12
	global_store_dword v[0:1], v3, off offset:392
	global_store_dword v[0:1], v2, off offset:800
.LBB0_27:
	s_endpgm
	.section	.rodata,"a",@progbits
	.p2align	6, 0x0
	.amdhsa_kernel fft_rtc_back_len1326_factors_17_6_13_wgs_204_tpt_102_halfLds_half_op_CI_CI_unitstride_sbrr_dirReg
		.amdhsa_group_segment_fixed_size 0
		.amdhsa_private_segment_fixed_size 0
		.amdhsa_kernarg_size 104
		.amdhsa_user_sgpr_count 6
		.amdhsa_user_sgpr_private_segment_buffer 1
		.amdhsa_user_sgpr_dispatch_ptr 0
		.amdhsa_user_sgpr_queue_ptr 0
		.amdhsa_user_sgpr_kernarg_segment_ptr 1
		.amdhsa_user_sgpr_dispatch_id 0
		.amdhsa_user_sgpr_flat_scratch_init 0
		.amdhsa_user_sgpr_private_segment_size 0
		.amdhsa_uses_dynamic_stack 0
		.amdhsa_system_sgpr_private_segment_wavefront_offset 0
		.amdhsa_system_sgpr_workgroup_id_x 1
		.amdhsa_system_sgpr_workgroup_id_y 0
		.amdhsa_system_sgpr_workgroup_id_z 0
		.amdhsa_system_sgpr_workgroup_info 0
		.amdhsa_system_vgpr_workitem_id 0
		.amdhsa_next_free_vgpr 140
		.amdhsa_next_free_sgpr 31
		.amdhsa_reserve_vcc 1
		.amdhsa_reserve_flat_scratch 0
		.amdhsa_float_round_mode_32 0
		.amdhsa_float_round_mode_16_64 0
		.amdhsa_float_denorm_mode_32 3
		.amdhsa_float_denorm_mode_16_64 3
		.amdhsa_dx10_clamp 1
		.amdhsa_ieee_mode 1
		.amdhsa_fp16_overflow 0
		.amdhsa_exception_fp_ieee_invalid_op 0
		.amdhsa_exception_fp_denorm_src 0
		.amdhsa_exception_fp_ieee_div_zero 0
		.amdhsa_exception_fp_ieee_overflow 0
		.amdhsa_exception_fp_ieee_underflow 0
		.amdhsa_exception_fp_ieee_inexact 0
		.amdhsa_exception_int_div_zero 0
	.end_amdhsa_kernel
	.text
.Lfunc_end0:
	.size	fft_rtc_back_len1326_factors_17_6_13_wgs_204_tpt_102_halfLds_half_op_CI_CI_unitstride_sbrr_dirReg, .Lfunc_end0-fft_rtc_back_len1326_factors_17_6_13_wgs_204_tpt_102_halfLds_half_op_CI_CI_unitstride_sbrr_dirReg
                                        ; -- End function
	.section	.AMDGPU.csdata,"",@progbits
; Kernel info:
; codeLenInByte = 12968
; NumSgprs: 35
; NumVgprs: 140
; ScratchSize: 0
; MemoryBound: 0
; FloatMode: 240
; IeeeMode: 1
; LDSByteSize: 0 bytes/workgroup (compile time only)
; SGPRBlocks: 4
; VGPRBlocks: 34
; NumSGPRsForWavesPerEU: 35
; NumVGPRsForWavesPerEU: 140
; Occupancy: 1
; WaveLimiterHint : 1
; COMPUTE_PGM_RSRC2:SCRATCH_EN: 0
; COMPUTE_PGM_RSRC2:USER_SGPR: 6
; COMPUTE_PGM_RSRC2:TRAP_HANDLER: 0
; COMPUTE_PGM_RSRC2:TGID_X_EN: 1
; COMPUTE_PGM_RSRC2:TGID_Y_EN: 0
; COMPUTE_PGM_RSRC2:TGID_Z_EN: 0
; COMPUTE_PGM_RSRC2:TIDIG_COMP_CNT: 0
	.type	__hip_cuid_b15416bfdbbf8ca4,@object ; @__hip_cuid_b15416bfdbbf8ca4
	.section	.bss,"aw",@nobits
	.globl	__hip_cuid_b15416bfdbbf8ca4
__hip_cuid_b15416bfdbbf8ca4:
	.byte	0                               ; 0x0
	.size	__hip_cuid_b15416bfdbbf8ca4, 1

	.ident	"AMD clang version 19.0.0git (https://github.com/RadeonOpenCompute/llvm-project roc-6.4.0 25133 c7fe45cf4b819c5991fe208aaa96edf142730f1d)"
	.section	".note.GNU-stack","",@progbits
	.addrsig
	.addrsig_sym __hip_cuid_b15416bfdbbf8ca4
	.amdgpu_metadata
---
amdhsa.kernels:
  - .args:
      - .actual_access:  read_only
        .address_space:  global
        .offset:         0
        .size:           8
        .value_kind:     global_buffer
      - .offset:         8
        .size:           8
        .value_kind:     by_value
      - .actual_access:  read_only
        .address_space:  global
        .offset:         16
        .size:           8
        .value_kind:     global_buffer
      - .actual_access:  read_only
        .address_space:  global
        .offset:         24
        .size:           8
        .value_kind:     global_buffer
      - .actual_access:  read_only
        .address_space:  global
        .offset:         32
        .size:           8
        .value_kind:     global_buffer
      - .offset:         40
        .size:           8
        .value_kind:     by_value
      - .actual_access:  read_only
        .address_space:  global
        .offset:         48
        .size:           8
        .value_kind:     global_buffer
      - .actual_access:  read_only
        .address_space:  global
        .offset:         56
        .size:           8
        .value_kind:     global_buffer
      - .offset:         64
        .size:           4
        .value_kind:     by_value
      - .actual_access:  read_only
        .address_space:  global
        .offset:         72
        .size:           8
        .value_kind:     global_buffer
      - .actual_access:  read_only
        .address_space:  global
        .offset:         80
        .size:           8
        .value_kind:     global_buffer
      - .actual_access:  read_only
        .address_space:  global
        .offset:         88
        .size:           8
        .value_kind:     global_buffer
      - .actual_access:  write_only
        .address_space:  global
        .offset:         96
        .size:           8
        .value_kind:     global_buffer
    .group_segment_fixed_size: 0
    .kernarg_segment_align: 8
    .kernarg_segment_size: 104
    .language:       OpenCL C
    .language_version:
      - 2
      - 0
    .max_flat_workgroup_size: 204
    .name:           fft_rtc_back_len1326_factors_17_6_13_wgs_204_tpt_102_halfLds_half_op_CI_CI_unitstride_sbrr_dirReg
    .private_segment_fixed_size: 0
    .sgpr_count:     35
    .sgpr_spill_count: 0
    .symbol:         fft_rtc_back_len1326_factors_17_6_13_wgs_204_tpt_102_halfLds_half_op_CI_CI_unitstride_sbrr_dirReg.kd
    .uniform_work_group_size: 1
    .uses_dynamic_stack: false
    .vgpr_count:     140
    .vgpr_spill_count: 0
    .wavefront_size: 64
amdhsa.target:   amdgcn-amd-amdhsa--gfx906
amdhsa.version:
  - 1
  - 2
...

	.end_amdgpu_metadata
